;; amdgpu-corpus repo=ROCm/rccl kind=compiled arch=gfx90a opt=O3
	.text
	.amdgcn_target "amdgcn-amd-amdhsa--gfx90a"
	.amdhsa_code_object_version 6
	.p2align	2                               ; -- Begin function __ockl_fprintf_append_string_n
	.type	__ockl_fprintf_append_string_n,@function
__ockl_fprintf_append_string_n:         ; @__ockl_fprintf_append_string_n
; %bb.0:
	s_waitcnt vmcnt(0) expcnt(0) lgkmcnt(0)
	v_mov_b32_e32 v9, v3
	v_mov_b32_e32 v8, v2
	v_or_b32_e32 v2, 2, v0
	v_cmp_eq_u32_e32 vcc, 0, v6
	s_mov_b32 s22, 0
	v_cndmask_b32_e32 v0, v2, v0, vcc
	s_mov_b64 s[6:7], 0
	v_cmp_ne_u64_e32 vcc, 0, v[8:9]
	v_mbcnt_lo_u32_b32 v2, -1, 0
	s_and_saveexec_b64 s[4:5], vcc
	s_xor_b64 s[10:11], exec, s[4:5]
	s_cbranch_execz .LBB0_86
; %bb.1:
	s_load_dwordx2 s[12:13], s[8:9], 0x50
	v_and_b32_e32 v6, 2, v0
	v_mov_b32_e32 v31, 0
	v_and_b32_e32 v0, -3, v0
	v_mbcnt_hi_u32_b32 v32, -1, v2
	s_movk_i32 s23, 0xff1f
	v_mov_b32_e32 v12, 2
	v_mov_b32_e32 v13, 1
	s_branch .LBB0_3
.LBB0_2:                                ;   in Loop: Header=BB0_3 Depth=1
	s_or_b64 exec, exec, s[16:17]
	v_sub_co_u32_e32 v4, vcc, v4, v34
	v_subb_co_u32_e32 v5, vcc, v5, v35, vcc
	v_cmp_eq_u64_e32 vcc, 0, v[4:5]
	s_or_b64 s[6:7], vcc, s[6:7]
	v_add_co_u32_e32 v8, vcc, v8, v34
	v_addc_co_u32_e32 v9, vcc, v9, v35, vcc
	s_andn2_b64 exec, exec, s[6:7]
	s_cbranch_execz .LBB0_85
.LBB0_3:                                ; =>This Loop Header: Depth=1
                                        ;     Child Loop BB0_6 Depth 2
                                        ;     Child Loop BB0_14 Depth 2
	;; [unrolled: 1-line block ×11, first 2 shown]
	v_cmp_gt_u64_e32 vcc, 56, v[4:5]
	v_cndmask_b32_e32 v35, 0, v5, vcc
	v_cndmask_b32_e32 v34, 56, v4, vcc
	v_cmp_gt_u64_e32 vcc, 8, v[4:5]
                                        ; implicit-def: $vgpr2_vgpr3
                                        ; implicit-def: $sgpr14
	s_and_saveexec_b64 s[4:5], vcc
	s_xor_b64 s[4:5], exec, s[4:5]
	s_cbranch_execz .LBB0_9
; %bb.4:                                ;   in Loop: Header=BB0_3 Depth=1
	s_mov_b64 s[16:17], 0
	v_cmp_ne_u64_e32 vcc, 0, v[4:5]
	s_waitcnt vmcnt(0)
	v_pk_mov_b32 v[2:3], 0, 0
	s_and_saveexec_b64 s[14:15], vcc
	s_cbranch_execz .LBB0_8
; %bb.5:                                ;   in Loop: Header=BB0_3 Depth=1
	v_lshlrev_b64 v[10:11], 3, v[34:35]
	v_pk_mov_b32 v[2:3], 0, 0
	v_pk_mov_b32 v[14:15], v[8:9], v[8:9] op_sel:[0,1]
	s_mov_b64 s[18:19], 0
.LBB0_6:                                ;   Parent Loop BB0_3 Depth=1
                                        ; =>  This Inner Loop Header: Depth=2
	flat_load_ubyte v7, v[14:15]
	v_mov_b32_e32 v17, s22
	v_add_co_u32_e32 v14, vcc, 1, v14
	v_addc_co_u32_e32 v15, vcc, 0, v15, vcc
	s_waitcnt vmcnt(0) lgkmcnt(0)
	v_and_b32_e32 v16, 0xffff, v7
	v_lshlrev_b64 v[16:17], s18, v[16:17]
	s_add_u32 s18, s18, 8
	s_addc_u32 s19, s19, 0
	v_cmp_eq_u32_e32 vcc, s18, v10
	v_or_b32_e32 v3, v17, v3
	s_or_b64 s[16:17], vcc, s[16:17]
	v_or_b32_e32 v2, v16, v2
	s_andn2_b64 exec, exec, s[16:17]
	s_cbranch_execnz .LBB0_6
; %bb.7:                                ;   in Loop: Header=BB0_3 Depth=1
	s_or_b64 exec, exec, s[16:17]
.LBB0_8:                                ;   in Loop: Header=BB0_3 Depth=1
	s_or_b64 exec, exec, s[14:15]
	s_mov_b32 s14, 0
.LBB0_9:                                ;   in Loop: Header=BB0_3 Depth=1
	s_or_saveexec_b64 s[4:5], s[4:5]
	v_mov_b32_e32 v7, s14
	v_pk_mov_b32 v[10:11], v[8:9], v[8:9] op_sel:[0,1]
	s_xor_b64 exec, exec, s[4:5]
	s_cbranch_execz .LBB0_11
; %bb.10:                               ;   in Loop: Header=BB0_3 Depth=1
	s_waitcnt vmcnt(0)
	flat_load_dwordx2 v[2:3], v[8:9]
	v_add_u32_e32 v7, -8, v34
	s_waitcnt vmcnt(0) lgkmcnt(0)
	v_and_b32_e32 v10, 0xff, v3
	v_and_b32_e32 v11, 0xff00, v3
	;; [unrolled: 1-line block ×4, first 2 shown]
	v_or_b32_e32 v10, v10, v11
	v_or3_b32 v3, v10, v14, v3
	v_add_co_u32_e32 v10, vcc, 8, v8
	v_or3_b32 v2, v2, 0, 0
	v_addc_co_u32_e32 v11, vcc, 0, v9, vcc
.LBB0_11:                               ;   in Loop: Header=BB0_3 Depth=1
	s_or_b64 exec, exec, s[4:5]
	v_cmp_gt_u32_e32 vcc, 8, v7
                                        ; implicit-def: $vgpr14_vgpr15
                                        ; implicit-def: $sgpr14
	s_and_saveexec_b64 s[4:5], vcc
	s_xor_b64 s[4:5], exec, s[4:5]
	s_cbranch_execz .LBB0_17
; %bb.12:                               ;   in Loop: Header=BB0_3 Depth=1
	v_cmp_ne_u32_e32 vcc, 0, v7
	v_pk_mov_b32 v[14:15], 0, 0
	s_and_saveexec_b64 s[14:15], vcc
	s_cbranch_execz .LBB0_16
; %bb.13:                               ;   in Loop: Header=BB0_3 Depth=1
	s_mov_b64 s[16:17], 0
	v_pk_mov_b32 v[14:15], 0, 0
	s_mov_b64 s[18:19], 0
	s_mov_b64 s[20:21], 0
.LBB0_14:                               ;   Parent Loop BB0_3 Depth=1
                                        ; =>  This Inner Loop Header: Depth=2
	v_mov_b32_e32 v17, s21
	v_add_co_u32_e32 v16, vcc, s20, v10
	v_addc_co_u32_e32 v17, vcc, v11, v17, vcc
	flat_load_ubyte v16, v[16:17]
	s_add_u32 s20, s20, 1
	v_mov_b32_e32 v17, s22
	s_addc_u32 s21, s21, 0
	v_cmp_eq_u32_e32 vcc, s20, v7
	s_waitcnt vmcnt(0) lgkmcnt(0)
	v_and_b32_e32 v16, 0xffff, v16
	v_lshlrev_b64 v[16:17], s18, v[16:17]
	s_add_u32 s18, s18, 8
	s_addc_u32 s19, s19, 0
	v_or_b32_e32 v15, v17, v15
	s_or_b64 s[16:17], vcc, s[16:17]
	v_or_b32_e32 v14, v16, v14
	s_andn2_b64 exec, exec, s[16:17]
	s_cbranch_execnz .LBB0_14
; %bb.15:                               ;   in Loop: Header=BB0_3 Depth=1
	s_or_b64 exec, exec, s[16:17]
.LBB0_16:                               ;   in Loop: Header=BB0_3 Depth=1
	s_or_b64 exec, exec, s[14:15]
	s_mov_b32 s14, 0
                                        ; implicit-def: $vgpr7
.LBB0_17:                               ;   in Loop: Header=BB0_3 Depth=1
	s_or_saveexec_b64 s[4:5], s[4:5]
	v_mov_b32_e32 v18, s14
	s_xor_b64 exec, exec, s[4:5]
	s_cbranch_execz .LBB0_19
; %bb.18:                               ;   in Loop: Header=BB0_3 Depth=1
	flat_load_dwordx2 v[14:15], v[10:11]
	v_add_u32_e32 v18, -8, v7
	v_add_co_u32_e32 v10, vcc, 8, v10
	v_addc_co_u32_e32 v11, vcc, 0, v11, vcc
	s_waitcnt vmcnt(0) lgkmcnt(0)
	v_and_b32_e32 v7, 0xff, v15
	v_and_b32_e32 v16, 0xff00, v15
	;; [unrolled: 1-line block ×4, first 2 shown]
	v_or_b32_e32 v7, v7, v16
	v_or3_b32 v14, v14, 0, 0
	v_or3_b32 v15, v7, v17, v15
.LBB0_19:                               ;   in Loop: Header=BB0_3 Depth=1
	s_or_b64 exec, exec, s[4:5]
	v_cmp_gt_u32_e32 vcc, 8, v18
                                        ; implicit-def: $sgpr14
	s_and_saveexec_b64 s[4:5], vcc
	s_xor_b64 s[4:5], exec, s[4:5]
	s_cbranch_execz .LBB0_25
; %bb.20:                               ;   in Loop: Header=BB0_3 Depth=1
	v_cmp_ne_u32_e32 vcc, 0, v18
	v_pk_mov_b32 v[16:17], 0, 0
	s_and_saveexec_b64 s[14:15], vcc
	s_cbranch_execz .LBB0_24
; %bb.21:                               ;   in Loop: Header=BB0_3 Depth=1
	s_mov_b64 s[16:17], 0
	v_pk_mov_b32 v[16:17], 0, 0
	s_mov_b64 s[18:19], 0
	s_mov_b64 s[20:21], 0
.LBB0_22:                               ;   Parent Loop BB0_3 Depth=1
                                        ; =>  This Inner Loop Header: Depth=2
	v_mov_b32_e32 v7, s21
	v_add_co_u32_e32 v20, vcc, s20, v10
	v_addc_co_u32_e32 v21, vcc, v11, v7, vcc
	flat_load_ubyte v7, v[20:21]
	s_add_u32 s20, s20, 1
	v_mov_b32_e32 v21, s22
	s_addc_u32 s21, s21, 0
	v_cmp_eq_u32_e32 vcc, s20, v18
	s_waitcnt vmcnt(0) lgkmcnt(0)
	v_and_b32_e32 v20, 0xffff, v7
	v_lshlrev_b64 v[20:21], s18, v[20:21]
	s_add_u32 s18, s18, 8
	s_addc_u32 s19, s19, 0
	v_or_b32_e32 v17, v21, v17
	s_or_b64 s[16:17], vcc, s[16:17]
	v_or_b32_e32 v16, v20, v16
	s_andn2_b64 exec, exec, s[16:17]
	s_cbranch_execnz .LBB0_22
; %bb.23:                               ;   in Loop: Header=BB0_3 Depth=1
	s_or_b64 exec, exec, s[16:17]
.LBB0_24:                               ;   in Loop: Header=BB0_3 Depth=1
	s_or_b64 exec, exec, s[14:15]
	s_mov_b32 s14, 0
                                        ; implicit-def: $vgpr18
.LBB0_25:                               ;   in Loop: Header=BB0_3 Depth=1
	s_or_saveexec_b64 s[4:5], s[4:5]
	v_mov_b32_e32 v7, s14
	s_xor_b64 exec, exec, s[4:5]
	s_cbranch_execz .LBB0_27
; %bb.26:                               ;   in Loop: Header=BB0_3 Depth=1
	flat_load_dwordx2 v[16:17], v[10:11]
	v_add_u32_e32 v7, -8, v18
	v_add_co_u32_e32 v10, vcc, 8, v10
	v_addc_co_u32_e32 v11, vcc, 0, v11, vcc
	s_waitcnt vmcnt(0) lgkmcnt(0)
	v_and_b32_e32 v18, 0xff, v17
	v_and_b32_e32 v19, 0xff00, v17
	;; [unrolled: 1-line block ×4, first 2 shown]
	v_or_b32_e32 v18, v18, v19
	v_or3_b32 v16, v16, 0, 0
	v_or3_b32 v17, v18, v20, v17
.LBB0_27:                               ;   in Loop: Header=BB0_3 Depth=1
	s_or_b64 exec, exec, s[4:5]
	v_cmp_gt_u32_e32 vcc, 8, v7
                                        ; implicit-def: $vgpr18_vgpr19
                                        ; implicit-def: $sgpr14
	s_and_saveexec_b64 s[4:5], vcc
	s_xor_b64 s[4:5], exec, s[4:5]
	s_cbranch_execz .LBB0_33
; %bb.28:                               ;   in Loop: Header=BB0_3 Depth=1
	v_cmp_ne_u32_e32 vcc, 0, v7
	v_pk_mov_b32 v[18:19], 0, 0
	s_and_saveexec_b64 s[14:15], vcc
	s_cbranch_execz .LBB0_32
; %bb.29:                               ;   in Loop: Header=BB0_3 Depth=1
	s_mov_b64 s[16:17], 0
	v_pk_mov_b32 v[18:19], 0, 0
	s_mov_b64 s[18:19], 0
	s_mov_b64 s[20:21], 0
.LBB0_30:                               ;   Parent Loop BB0_3 Depth=1
                                        ; =>  This Inner Loop Header: Depth=2
	v_mov_b32_e32 v21, s21
	v_add_co_u32_e32 v20, vcc, s20, v10
	v_addc_co_u32_e32 v21, vcc, v11, v21, vcc
	flat_load_ubyte v20, v[20:21]
	s_add_u32 s20, s20, 1
	v_mov_b32_e32 v21, s22
	s_addc_u32 s21, s21, 0
	v_cmp_eq_u32_e32 vcc, s20, v7
	s_waitcnt vmcnt(0) lgkmcnt(0)
	v_and_b32_e32 v20, 0xffff, v20
	v_lshlrev_b64 v[20:21], s18, v[20:21]
	s_add_u32 s18, s18, 8
	s_addc_u32 s19, s19, 0
	v_or_b32_e32 v19, v21, v19
	s_or_b64 s[16:17], vcc, s[16:17]
	v_or_b32_e32 v18, v20, v18
	s_andn2_b64 exec, exec, s[16:17]
	s_cbranch_execnz .LBB0_30
; %bb.31:                               ;   in Loop: Header=BB0_3 Depth=1
	s_or_b64 exec, exec, s[16:17]
.LBB0_32:                               ;   in Loop: Header=BB0_3 Depth=1
	s_or_b64 exec, exec, s[14:15]
	s_mov_b32 s14, 0
                                        ; implicit-def: $vgpr7
.LBB0_33:                               ;   in Loop: Header=BB0_3 Depth=1
	s_or_saveexec_b64 s[4:5], s[4:5]
	v_mov_b32_e32 v22, s14
	s_xor_b64 exec, exec, s[4:5]
	s_cbranch_execz .LBB0_35
; %bb.34:                               ;   in Loop: Header=BB0_3 Depth=1
	flat_load_dwordx2 v[18:19], v[10:11]
	v_add_u32_e32 v22, -8, v7
	v_add_co_u32_e32 v10, vcc, 8, v10
	v_addc_co_u32_e32 v11, vcc, 0, v11, vcc
	s_waitcnt vmcnt(0) lgkmcnt(0)
	v_and_b32_e32 v7, 0xff, v19
	v_and_b32_e32 v20, 0xff00, v19
	;; [unrolled: 1-line block ×4, first 2 shown]
	v_or_b32_e32 v7, v7, v20
	v_or3_b32 v18, v18, 0, 0
	v_or3_b32 v19, v7, v21, v19
.LBB0_35:                               ;   in Loop: Header=BB0_3 Depth=1
	s_or_b64 exec, exec, s[4:5]
	v_cmp_gt_u32_e32 vcc, 8, v22
                                        ; implicit-def: $sgpr14
	s_and_saveexec_b64 s[4:5], vcc
	s_xor_b64 s[4:5], exec, s[4:5]
	s_cbranch_execz .LBB0_41
; %bb.36:                               ;   in Loop: Header=BB0_3 Depth=1
	v_cmp_ne_u32_e32 vcc, 0, v22
	v_pk_mov_b32 v[20:21], 0, 0
	s_and_saveexec_b64 s[14:15], vcc
	s_cbranch_execz .LBB0_40
; %bb.37:                               ;   in Loop: Header=BB0_3 Depth=1
	s_mov_b64 s[16:17], 0
	v_pk_mov_b32 v[20:21], 0, 0
	s_mov_b64 s[18:19], 0
	s_mov_b64 s[20:21], 0
.LBB0_38:                               ;   Parent Loop BB0_3 Depth=1
                                        ; =>  This Inner Loop Header: Depth=2
	v_mov_b32_e32 v7, s21
	v_add_co_u32_e32 v24, vcc, s20, v10
	v_addc_co_u32_e32 v25, vcc, v11, v7, vcc
	flat_load_ubyte v7, v[24:25]
	s_add_u32 s20, s20, 1
	v_mov_b32_e32 v25, s22
	s_addc_u32 s21, s21, 0
	v_cmp_eq_u32_e32 vcc, s20, v22
	s_waitcnt vmcnt(0) lgkmcnt(0)
	v_and_b32_e32 v24, 0xffff, v7
	v_lshlrev_b64 v[24:25], s18, v[24:25]
	s_add_u32 s18, s18, 8
	s_addc_u32 s19, s19, 0
	v_or_b32_e32 v21, v25, v21
	s_or_b64 s[16:17], vcc, s[16:17]
	v_or_b32_e32 v20, v24, v20
	s_andn2_b64 exec, exec, s[16:17]
	s_cbranch_execnz .LBB0_38
; %bb.39:                               ;   in Loop: Header=BB0_3 Depth=1
	s_or_b64 exec, exec, s[16:17]
.LBB0_40:                               ;   in Loop: Header=BB0_3 Depth=1
	s_or_b64 exec, exec, s[14:15]
	s_mov_b32 s14, 0
                                        ; implicit-def: $vgpr22
.LBB0_41:                               ;   in Loop: Header=BB0_3 Depth=1
	s_or_saveexec_b64 s[4:5], s[4:5]
	v_mov_b32_e32 v7, s14
	s_xor_b64 exec, exec, s[4:5]
	s_cbranch_execz .LBB0_43
; %bb.42:                               ;   in Loop: Header=BB0_3 Depth=1
	flat_load_dwordx2 v[20:21], v[10:11]
	v_add_u32_e32 v7, -8, v22
	v_add_co_u32_e32 v10, vcc, 8, v10
	v_addc_co_u32_e32 v11, vcc, 0, v11, vcc
	s_waitcnt vmcnt(0) lgkmcnt(0)
	v_and_b32_e32 v22, 0xff, v21
	v_and_b32_e32 v23, 0xff00, v21
	;; [unrolled: 1-line block ×4, first 2 shown]
	v_or_b32_e32 v22, v22, v23
	v_or3_b32 v20, v20, 0, 0
	v_or3_b32 v21, v22, v24, v21
.LBB0_43:                               ;   in Loop: Header=BB0_3 Depth=1
	s_or_b64 exec, exec, s[4:5]
	v_cmp_gt_u32_e32 vcc, 8, v7
                                        ; implicit-def: $vgpr22_vgpr23
                                        ; implicit-def: $sgpr14
	s_and_saveexec_b64 s[4:5], vcc
	s_xor_b64 s[4:5], exec, s[4:5]
	s_cbranch_execz .LBB0_49
; %bb.44:                               ;   in Loop: Header=BB0_3 Depth=1
	v_cmp_ne_u32_e32 vcc, 0, v7
	v_pk_mov_b32 v[22:23], 0, 0
	s_and_saveexec_b64 s[14:15], vcc
	s_cbranch_execz .LBB0_48
; %bb.45:                               ;   in Loop: Header=BB0_3 Depth=1
	s_mov_b64 s[16:17], 0
	v_pk_mov_b32 v[22:23], 0, 0
	s_mov_b64 s[18:19], 0
	s_mov_b64 s[20:21], 0
.LBB0_46:                               ;   Parent Loop BB0_3 Depth=1
                                        ; =>  This Inner Loop Header: Depth=2
	v_mov_b32_e32 v25, s21
	v_add_co_u32_e32 v24, vcc, s20, v10
	v_addc_co_u32_e32 v25, vcc, v11, v25, vcc
	flat_load_ubyte v24, v[24:25]
	s_add_u32 s20, s20, 1
	v_mov_b32_e32 v25, s22
	s_addc_u32 s21, s21, 0
	v_cmp_eq_u32_e32 vcc, s20, v7
	s_waitcnt vmcnt(0) lgkmcnt(0)
	v_and_b32_e32 v24, 0xffff, v24
	v_lshlrev_b64 v[24:25], s18, v[24:25]
	s_add_u32 s18, s18, 8
	s_addc_u32 s19, s19, 0
	v_or_b32_e32 v23, v25, v23
	s_or_b64 s[16:17], vcc, s[16:17]
	v_or_b32_e32 v22, v24, v22
	s_andn2_b64 exec, exec, s[16:17]
	s_cbranch_execnz .LBB0_46
; %bb.47:                               ;   in Loop: Header=BB0_3 Depth=1
	s_or_b64 exec, exec, s[16:17]
.LBB0_48:                               ;   in Loop: Header=BB0_3 Depth=1
	s_or_b64 exec, exec, s[14:15]
	s_mov_b32 s14, 0
                                        ; implicit-def: $vgpr7
.LBB0_49:                               ;   in Loop: Header=BB0_3 Depth=1
	s_or_saveexec_b64 s[4:5], s[4:5]
	v_mov_b32_e32 v26, s14
	s_xor_b64 exec, exec, s[4:5]
	s_cbranch_execz .LBB0_51
; %bb.50:                               ;   in Loop: Header=BB0_3 Depth=1
	flat_load_dwordx2 v[22:23], v[10:11]
	v_add_u32_e32 v26, -8, v7
	v_add_co_u32_e32 v10, vcc, 8, v10
	v_addc_co_u32_e32 v11, vcc, 0, v11, vcc
	s_waitcnt vmcnt(0) lgkmcnt(0)
	v_and_b32_e32 v7, 0xff, v23
	v_and_b32_e32 v24, 0xff00, v23
	v_and_b32_e32 v25, 0xff0000, v23
	v_and_b32_e32 v23, 0xff000000, v23
	v_or_b32_e32 v7, v7, v24
	v_or3_b32 v22, v22, 0, 0
	v_or3_b32 v23, v7, v25, v23
.LBB0_51:                               ;   in Loop: Header=BB0_3 Depth=1
	s_or_b64 exec, exec, s[4:5]
	v_cmp_gt_u32_e32 vcc, 8, v26
	s_and_saveexec_b64 s[4:5], vcc
	s_xor_b64 s[4:5], exec, s[4:5]
	s_cbranch_execz .LBB0_57
; %bb.52:                               ;   in Loop: Header=BB0_3 Depth=1
	v_cmp_ne_u32_e32 vcc, 0, v26
	v_pk_mov_b32 v[24:25], 0, 0
	s_and_saveexec_b64 s[14:15], vcc
	s_cbranch_execz .LBB0_56
; %bb.53:                               ;   in Loop: Header=BB0_3 Depth=1
	s_mov_b64 s[16:17], 0
	v_pk_mov_b32 v[24:25], 0, 0
	s_mov_b64 s[18:19], 0
.LBB0_54:                               ;   Parent Loop BB0_3 Depth=1
                                        ; =>  This Inner Loop Header: Depth=2
	flat_load_ubyte v7, v[10:11]
	v_mov_b32_e32 v29, s22
	v_add_co_u32_e32 v10, vcc, 1, v10
	v_add_u32_e32 v26, -1, v26
	v_addc_co_u32_e32 v11, vcc, 0, v11, vcc
	v_cmp_eq_u32_e32 vcc, 0, v26
	s_waitcnt vmcnt(0) lgkmcnt(0)
	v_and_b32_e32 v28, 0xffff, v7
	v_lshlrev_b64 v[28:29], s18, v[28:29]
	s_add_u32 s18, s18, 8
	s_addc_u32 s19, s19, 0
	v_or_b32_e32 v25, v29, v25
	s_or_b64 s[16:17], vcc, s[16:17]
	v_or_b32_e32 v24, v28, v24
	s_andn2_b64 exec, exec, s[16:17]
	s_cbranch_execnz .LBB0_54
; %bb.55:                               ;   in Loop: Header=BB0_3 Depth=1
	s_or_b64 exec, exec, s[16:17]
.LBB0_56:                               ;   in Loop: Header=BB0_3 Depth=1
	s_or_b64 exec, exec, s[14:15]
                                        ; implicit-def: $vgpr10_vgpr11
.LBB0_57:                               ;   in Loop: Header=BB0_3 Depth=1
	s_andn2_saveexec_b64 s[4:5], s[4:5]
	s_cbranch_execz .LBB0_59
; %bb.58:                               ;   in Loop: Header=BB0_3 Depth=1
	flat_load_dwordx2 v[10:11], v[10:11]
	s_waitcnt vmcnt(0) lgkmcnt(0)
	v_and_b32_e32 v7, 0xff, v11
	v_and_b32_e32 v24, 0xff00, v11
	;; [unrolled: 1-line block ×4, first 2 shown]
	v_or_b32_e32 v7, v7, v24
	v_or3_b32 v25, v7, v25, v11
	v_or3_b32 v24, v10, 0, 0
.LBB0_59:                               ;   in Loop: Header=BB0_3 Depth=1
	s_or_b64 exec, exec, s[4:5]
	v_readfirstlane_b32 s4, v32
	v_cmp_eq_u32_e64 s[4:5], s4, v32
	v_pk_mov_b32 v[10:11], 0, 0
	s_and_saveexec_b64 s[14:15], s[4:5]
	s_cbranch_execz .LBB0_65
; %bb.60:                               ;   in Loop: Header=BB0_3 Depth=1
	s_waitcnt lgkmcnt(0)
	global_load_dwordx2 v[28:29], v31, s[12:13] offset:24 glc
	s_waitcnt vmcnt(0)
	buffer_invl2
	buffer_wbinvl1_vol
	global_load_dwordx2 v[10:11], v31, s[12:13] offset:40
	global_load_dwordx2 v[26:27], v31, s[12:13]
	s_waitcnt vmcnt(1)
	v_and_b32_e32 v7, v10, v28
	v_and_b32_e32 v10, v11, v29
	v_mul_lo_u32 v10, v10, 24
	v_mul_hi_u32 v11, v7, 24
	v_mul_lo_u32 v7, v7, 24
	v_add_u32_e32 v11, v11, v10
	s_waitcnt vmcnt(0)
	v_add_co_u32_e32 v10, vcc, v26, v7
	v_addc_co_u32_e32 v11, vcc, v27, v11, vcc
	global_load_dwordx2 v[26:27], v[10:11], off glc
	s_waitcnt vmcnt(0)
	global_atomic_cmpswap_x2 v[10:11], v31, v[26:29], s[12:13] offset:24 glc
	s_waitcnt vmcnt(0)
	buffer_invl2
	buffer_wbinvl1_vol
	v_cmp_ne_u64_e32 vcc, v[10:11], v[28:29]
	s_and_saveexec_b64 s[16:17], vcc
	s_cbranch_execz .LBB0_64
; %bb.61:                               ;   in Loop: Header=BB0_3 Depth=1
	s_mov_b64 s[18:19], 0
.LBB0_62:                               ;   Parent Loop BB0_3 Depth=1
                                        ; =>  This Inner Loop Header: Depth=2
	s_sleep 1
	global_load_dwordx2 v[26:27], v31, s[12:13] offset:40
	global_load_dwordx2 v[36:37], v31, s[12:13]
	v_pk_mov_b32 v[28:29], v[10:11], v[10:11] op_sel:[0,1]
	s_waitcnt vmcnt(1)
	v_and_b32_e32 v10, v26, v28
	s_waitcnt vmcnt(0)
	v_mad_u64_u32 v[10:11], s[20:21], v10, 24, v[36:37]
	v_and_b32_e32 v7, v27, v29
	v_mov_b32_e32 v26, v11
	v_mad_u64_u32 v[26:27], s[20:21], v7, 24, v[26:27]
	v_mov_b32_e32 v11, v26
	global_load_dwordx2 v[26:27], v[10:11], off glc
	s_waitcnt vmcnt(0)
	global_atomic_cmpswap_x2 v[10:11], v31, v[26:29], s[12:13] offset:24 glc
	s_waitcnt vmcnt(0)
	buffer_invl2
	buffer_wbinvl1_vol
	v_cmp_eq_u64_e32 vcc, v[10:11], v[28:29]
	s_or_b64 s[18:19], vcc, s[18:19]
	s_andn2_b64 exec, exec, s[18:19]
	s_cbranch_execnz .LBB0_62
; %bb.63:                               ;   in Loop: Header=BB0_3 Depth=1
	s_or_b64 exec, exec, s[18:19]
.LBB0_64:                               ;   in Loop: Header=BB0_3 Depth=1
	s_or_b64 exec, exec, s[16:17]
.LBB0_65:                               ;   in Loop: Header=BB0_3 Depth=1
	s_or_b64 exec, exec, s[14:15]
	s_waitcnt lgkmcnt(0)
	global_load_dwordx2 v[36:37], v31, s[12:13] offset:40
	global_load_dwordx4 v[26:29], v31, s[12:13]
	v_readfirstlane_b32 s14, v10
	v_readfirstlane_b32 s15, v11
	s_mov_b64 s[16:17], exec
	s_waitcnt vmcnt(1)
	v_readfirstlane_b32 s18, v36
	v_readfirstlane_b32 s19, v37
	s_and_b64 s[18:19], s[14:15], s[18:19]
	s_mul_i32 s20, s19, 24
	s_mul_hi_u32 s21, s18, 24
	s_mul_i32 s24, s18, 24
	s_add_i32 s20, s21, s20
	v_mov_b32_e32 v7, s20
	s_waitcnt vmcnt(0)
	v_add_co_u32_e32 v36, vcc, s24, v26
	v_addc_co_u32_e32 v37, vcc, v27, v7, vcc
	s_and_saveexec_b64 s[20:21], s[4:5]
	s_cbranch_execz .LBB0_67
; %bb.66:                               ;   in Loop: Header=BB0_3 Depth=1
	v_pk_mov_b32 v[10:11], s[16:17], s[16:17] op_sel:[0,1]
	global_store_dwordx4 v[36:37], v[10:13], off offset:8
.LBB0_67:                               ;   in Loop: Header=BB0_3 Depth=1
	s_or_b64 exec, exec, s[20:21]
	s_lshl_b64 s[16:17], s[18:19], 12
	v_mov_b32_e32 v7, s17
	v_add_co_u32_e32 v10, vcc, s16, v28
	v_addc_co_u32_e32 v7, vcc, v29, v7, vcc
	v_or_b32_e32 v11, 0, v1
	v_cmp_lt_u64_e32 vcc, 56, v[4:5]
	v_or_b32_e32 v28, v0, v6
	v_cndmask_b32_e32 v1, v11, v1, vcc
	v_lshl_add_u32 v11, v34, 2, 28
	v_cndmask_b32_e32 v0, v28, v0, vcc
	v_and_b32_e32 v11, 0x1e0, v11
	v_and_or_b32 v0, v0, s23, v11
	v_lshlrev_b32_e32 v11, 6, v32
	v_readfirstlane_b32 s16, v10
	v_readfirstlane_b32 s17, v7
	s_nop 4
	global_store_dwordx4 v11, v[0:3], s[16:17]
	global_store_dwordx4 v11, v[14:17], s[16:17] offset:16
	global_store_dwordx4 v11, v[18:21], s[16:17] offset:32
	;; [unrolled: 1-line block ×3, first 2 shown]
	s_and_saveexec_b64 s[16:17], s[4:5]
	s_cbranch_execz .LBB0_75
; %bb.68:                               ;   in Loop: Header=BB0_3 Depth=1
	global_load_dwordx2 v[18:19], v31, s[12:13] offset:32 glc
	global_load_dwordx2 v[0:1], v31, s[12:13] offset:40
	v_mov_b32_e32 v16, s14
	v_mov_b32_e32 v17, s15
	s_waitcnt vmcnt(0)
	v_readfirstlane_b32 s18, v0
	v_readfirstlane_b32 s19, v1
	s_and_b64 s[18:19], s[18:19], s[14:15]
	s_mul_i32 s19, s19, 24
	s_mul_hi_u32 s20, s18, 24
	s_mul_i32 s18, s18, 24
	s_add_i32 s19, s20, s19
	v_mov_b32_e32 v0, s19
	v_add_co_u32_e32 v14, vcc, s18, v26
	v_addc_co_u32_e32 v15, vcc, v27, v0, vcc
	global_store_dwordx2 v[14:15], v[18:19], off
	buffer_wbl2
	s_waitcnt vmcnt(0)
	global_atomic_cmpswap_x2 v[2:3], v31, v[16:19], s[12:13] offset:32 glc
	s_waitcnt vmcnt(0)
	v_cmp_ne_u64_e32 vcc, v[2:3], v[18:19]
	s_and_saveexec_b64 s[18:19], vcc
	s_cbranch_execz .LBB0_71
; %bb.69:                               ;   in Loop: Header=BB0_3 Depth=1
	s_mov_b64 s[20:21], 0
.LBB0_70:                               ;   Parent Loop BB0_3 Depth=1
                                        ; =>  This Inner Loop Header: Depth=2
	s_sleep 1
	global_store_dwordx2 v[14:15], v[2:3], off
	v_mov_b32_e32 v0, s14
	v_mov_b32_e32 v1, s15
	buffer_wbl2
	s_waitcnt vmcnt(0)
	global_atomic_cmpswap_x2 v[0:1], v31, v[0:3], s[12:13] offset:32 glc
	s_waitcnt vmcnt(0)
	v_cmp_eq_u64_e32 vcc, v[0:1], v[2:3]
	s_or_b64 s[20:21], vcc, s[20:21]
	v_pk_mov_b32 v[2:3], v[0:1], v[0:1] op_sel:[0,1]
	s_andn2_b64 exec, exec, s[20:21]
	s_cbranch_execnz .LBB0_70
.LBB0_71:                               ;   in Loop: Header=BB0_3 Depth=1
	s_or_b64 exec, exec, s[18:19]
	global_load_dwordx2 v[0:1], v31, s[12:13] offset:16
	s_mov_b64 s[20:21], exec
	v_mbcnt_lo_u32_b32 v2, s20, 0
	v_mbcnt_hi_u32_b32 v2, s21, v2
	v_cmp_eq_u32_e32 vcc, 0, v2
	s_and_saveexec_b64 s[18:19], vcc
	s_cbranch_execz .LBB0_73
; %bb.72:                               ;   in Loop: Header=BB0_3 Depth=1
	s_bcnt1_i32_b64 s20, s[20:21]
	v_mov_b32_e32 v30, s20
	buffer_wbl2
	s_waitcnt vmcnt(0)
	global_atomic_add_x2 v[0:1], v[30:31], off offset:8
.LBB0_73:                               ;   in Loop: Header=BB0_3 Depth=1
	s_or_b64 exec, exec, s[18:19]
	s_waitcnt vmcnt(0)
	global_load_dwordx2 v[2:3], v[0:1], off offset:16
	s_waitcnt vmcnt(0)
	v_cmp_eq_u64_e32 vcc, 0, v[2:3]
	s_cbranch_vccnz .LBB0_75
; %bb.74:                               ;   in Loop: Header=BB0_3 Depth=1
	global_load_dword v30, v[0:1], off offset:24
	s_waitcnt vmcnt(0)
	v_and_b32_e32 v0, 0xffffff, v30
	v_readfirstlane_b32 m0, v0
	buffer_wbl2
	global_store_dwordx2 v[2:3], v[30:31], off
	s_sendmsg sendmsg(MSG_INTERRUPT)
.LBB0_75:                               ;   in Loop: Header=BB0_3 Depth=1
	s_or_b64 exec, exec, s[16:17]
	v_add_co_u32_e32 v0, vcc, v10, v11
	v_addc_co_u32_e32 v1, vcc, 0, v7, vcc
	s_branch .LBB0_79
.LBB0_76:                               ;   in Loop: Header=BB0_79 Depth=2
	s_or_b64 exec, exec, s[16:17]
	v_readfirstlane_b32 s16, v2
	s_cmp_eq_u32 s16, 0
	s_cbranch_scc1 .LBB0_78
; %bb.77:                               ;   in Loop: Header=BB0_79 Depth=2
	s_sleep 1
	s_cbranch_execnz .LBB0_79
	s_branch .LBB0_81
.LBB0_78:                               ;   in Loop: Header=BB0_3 Depth=1
	s_branch .LBB0_81
.LBB0_79:                               ;   Parent Loop BB0_3 Depth=1
                                        ; =>  This Inner Loop Header: Depth=2
	v_mov_b32_e32 v2, 1
	s_and_saveexec_b64 s[16:17], s[4:5]
	s_cbranch_execz .LBB0_76
; %bb.80:                               ;   in Loop: Header=BB0_79 Depth=2
	global_load_dword v2, v[36:37], off offset:20 glc
	s_waitcnt vmcnt(0)
	buffer_invl2
	buffer_wbinvl1_vol
	v_and_b32_e32 v2, 1, v2
	s_branch .LBB0_76
.LBB0_81:                               ;   in Loop: Header=BB0_3 Depth=1
	global_load_dwordx4 v[0:3], v[0:1], off
	s_and_saveexec_b64 s[16:17], s[4:5]
	s_cbranch_execz .LBB0_2
; %bb.82:                               ;   in Loop: Header=BB0_3 Depth=1
	global_load_dwordx2 v[2:3], v31, s[12:13] offset:40
	global_load_dwordx2 v[10:11], v31, s[12:13] offset:24 glc
	global_load_dwordx2 v[18:19], v31, s[12:13]
	v_mov_b32_e32 v7, s15
	s_waitcnt vmcnt(2)
	v_add_co_u32_e32 v17, vcc, 1, v2
	v_addc_co_u32_e32 v20, vcc, 0, v3, vcc
	v_add_co_u32_e32 v14, vcc, s14, v17
	v_addc_co_u32_e32 v15, vcc, v20, v7, vcc
	v_cmp_eq_u64_e32 vcc, 0, v[14:15]
	v_cndmask_b32_e32 v15, v15, v20, vcc
	v_cndmask_b32_e32 v14, v14, v17, vcc
	v_and_b32_e32 v3, v15, v3
	v_and_b32_e32 v2, v14, v2
	v_mul_lo_u32 v3, v3, 24
	v_mul_hi_u32 v7, v2, 24
	v_mul_lo_u32 v2, v2, 24
	v_add_u32_e32 v3, v7, v3
	s_waitcnt vmcnt(0)
	v_add_co_u32_e32 v2, vcc, v18, v2
	v_addc_co_u32_e32 v3, vcc, v19, v3, vcc
	v_mov_b32_e32 v16, v10
	global_store_dwordx2 v[2:3], v[10:11], off
	v_mov_b32_e32 v17, v11
	buffer_wbl2
	s_waitcnt vmcnt(0)
	global_atomic_cmpswap_x2 v[16:17], v31, v[14:17], s[12:13] offset:24 glc
	s_waitcnt vmcnt(0)
	v_cmp_ne_u64_e32 vcc, v[16:17], v[10:11]
	s_and_b64 exec, exec, vcc
	s_cbranch_execz .LBB0_2
; %bb.83:                               ;   in Loop: Header=BB0_3 Depth=1
	s_mov_b64 s[4:5], 0
.LBB0_84:                               ;   Parent Loop BB0_3 Depth=1
                                        ; =>  This Inner Loop Header: Depth=2
	s_sleep 1
	global_store_dwordx2 v[2:3], v[16:17], off
	buffer_wbl2
	s_waitcnt vmcnt(0)
	global_atomic_cmpswap_x2 v[10:11], v31, v[14:17], s[12:13] offset:24 glc
	s_waitcnt vmcnt(0)
	v_cmp_eq_u64_e32 vcc, v[10:11], v[16:17]
	s_or_b64 s[4:5], vcc, s[4:5]
	v_pk_mov_b32 v[16:17], v[10:11], v[10:11] op_sel:[0,1]
	s_andn2_b64 exec, exec, s[4:5]
	s_cbranch_execnz .LBB0_84
	s_branch .LBB0_2
.LBB0_85:
	s_or_b64 exec, exec, s[6:7]
                                        ; implicit-def: $vgpr0
                                        ; implicit-def: $vgpr1
                                        ; implicit-def: $vgpr2
.LBB0_86:
	s_andn2_saveexec_b64 s[6:7], s[10:11]
	s_cbranch_execz .LBB0_109
; %bb.87:
	s_load_dwordx2 s[8:9], s[8:9], 0x50
	s_waitcnt vmcnt(0)
	v_mbcnt_hi_u32_b32 v3, -1, v2
	v_readfirstlane_b32 s4, v3
	v_cmp_eq_u32_e64 s[4:5], s4, v3
	v_pk_mov_b32 v[8:9], 0, 0
	s_and_saveexec_b64 s[10:11], s[4:5]
	s_cbranch_execz .LBB0_93
; %bb.88:
	v_mov_b32_e32 v2, 0
	s_waitcnt lgkmcnt(0)
	global_load_dwordx2 v[6:7], v2, s[8:9] offset:24 glc
	s_waitcnt vmcnt(0)
	buffer_invl2
	buffer_wbinvl1_vol
	global_load_dwordx2 v[4:5], v2, s[8:9] offset:40
	global_load_dwordx2 v[8:9], v2, s[8:9]
	s_waitcnt vmcnt(1)
	v_and_b32_e32 v4, v4, v6
	v_and_b32_e32 v5, v5, v7
	v_mul_lo_u32 v5, v5, 24
	v_mul_hi_u32 v10, v4, 24
	v_mul_lo_u32 v4, v4, 24
	v_add_u32_e32 v5, v10, v5
	s_waitcnt vmcnt(0)
	v_add_co_u32_e32 v4, vcc, v8, v4
	v_addc_co_u32_e32 v5, vcc, v9, v5, vcc
	global_load_dwordx2 v[4:5], v[4:5], off glc
	s_waitcnt vmcnt(0)
	global_atomic_cmpswap_x2 v[8:9], v2, v[4:7], s[8:9] offset:24 glc
	s_waitcnt vmcnt(0)
	buffer_invl2
	buffer_wbinvl1_vol
	v_cmp_ne_u64_e32 vcc, v[8:9], v[6:7]
	s_and_saveexec_b64 s[12:13], vcc
	s_cbranch_execz .LBB0_92
; %bb.89:
	s_mov_b64 s[14:15], 0
.LBB0_90:                               ; =>This Inner Loop Header: Depth=1
	s_sleep 1
	global_load_dwordx2 v[4:5], v2, s[8:9] offset:40
	global_load_dwordx2 v[10:11], v2, s[8:9]
	v_pk_mov_b32 v[6:7], v[8:9], v[8:9] op_sel:[0,1]
	s_waitcnt vmcnt(1)
	v_and_b32_e32 v4, v4, v6
	v_and_b32_e32 v9, v5, v7
	s_waitcnt vmcnt(0)
	v_mad_u64_u32 v[4:5], s[16:17], v4, 24, v[10:11]
	v_mov_b32_e32 v8, v5
	v_mad_u64_u32 v[8:9], s[16:17], v9, 24, v[8:9]
	v_mov_b32_e32 v5, v8
	global_load_dwordx2 v[4:5], v[4:5], off glc
	s_waitcnt vmcnt(0)
	global_atomic_cmpswap_x2 v[8:9], v2, v[4:7], s[8:9] offset:24 glc
	s_waitcnt vmcnt(0)
	buffer_invl2
	buffer_wbinvl1_vol
	v_cmp_eq_u64_e32 vcc, v[8:9], v[6:7]
	s_or_b64 s[14:15], vcc, s[14:15]
	s_andn2_b64 exec, exec, s[14:15]
	s_cbranch_execnz .LBB0_90
; %bb.91:
	s_or_b64 exec, exec, s[14:15]
.LBB0_92:
	s_or_b64 exec, exec, s[12:13]
.LBB0_93:
	s_or_b64 exec, exec, s[10:11]
	v_mov_b32_e32 v2, 0
	s_waitcnt lgkmcnt(0)
	global_load_dwordx2 v[10:11], v2, s[8:9] offset:40
	global_load_dwordx4 v[4:7], v2, s[8:9]
	v_readfirstlane_b32 s10, v8
	v_readfirstlane_b32 s11, v9
	s_mov_b64 s[12:13], exec
	s_waitcnt vmcnt(1)
	v_readfirstlane_b32 s14, v10
	v_readfirstlane_b32 s15, v11
	s_and_b64 s[14:15], s[10:11], s[14:15]
	s_mul_i32 s16, s15, 24
	s_mul_hi_u32 s17, s14, 24
	s_mul_i32 s18, s14, 24
	s_add_i32 s16, s17, s16
	v_mov_b32_e32 v9, s16
	s_waitcnt vmcnt(0)
	v_add_co_u32_e32 v8, vcc, s18, v4
	v_addc_co_u32_e32 v9, vcc, v5, v9, vcc
	s_and_saveexec_b64 s[16:17], s[4:5]
	s_cbranch_execz .LBB0_95
; %bb.94:
	v_pk_mov_b32 v[10:11], s[12:13], s[12:13] op_sel:[0,1]
	v_mov_b32_e32 v12, 2
	v_mov_b32_e32 v13, 1
	global_store_dwordx4 v[8:9], v[10:13], off offset:8
.LBB0_95:
	s_or_b64 exec, exec, s[16:17]
	s_lshl_b64 s[12:13], s[14:15], 12
	v_mov_b32_e32 v10, s13
	v_add_co_u32_e32 v6, vcc, s12, v6
	s_movk_i32 s12, 0xff1f
	v_addc_co_u32_e32 v7, vcc, v7, v10, vcc
	v_and_or_b32 v0, v0, s12, 32
	s_mov_b32 s12, 0
	v_lshlrev_b32_e32 v10, 6, v3
	v_mov_b32_e32 v3, v2
	v_readfirstlane_b32 s16, v6
	v_readfirstlane_b32 s17, v7
	s_mov_b32 s13, s12
	s_mov_b32 s14, s12
	;; [unrolled: 1-line block ×3, first 2 shown]
	s_nop 1
	global_store_dwordx4 v10, v[0:3], s[16:17]
	s_nop 0
	v_pk_mov_b32 v[0:1], s[12:13], s[12:13] op_sel:[0,1]
	v_pk_mov_b32 v[2:3], s[14:15], s[14:15] op_sel:[0,1]
	global_store_dwordx4 v10, v[0:3], s[16:17] offset:16
	global_store_dwordx4 v10, v[0:3], s[16:17] offset:32
	;; [unrolled: 1-line block ×3, first 2 shown]
	s_and_saveexec_b64 s[12:13], s[4:5]
	s_cbranch_execz .LBB0_103
; %bb.96:
	v_mov_b32_e32 v6, 0
	global_load_dwordx2 v[12:13], v6, s[8:9] offset:32 glc
	global_load_dwordx2 v[0:1], v6, s[8:9] offset:40
	v_mov_b32_e32 v10, s10
	v_mov_b32_e32 v11, s11
	s_waitcnt vmcnt(0)
	v_and_b32_e32 v0, s10, v0
	v_and_b32_e32 v1, s11, v1
	v_mul_lo_u32 v1, v1, 24
	v_mul_hi_u32 v2, v0, 24
	v_mul_lo_u32 v0, v0, 24
	v_add_u32_e32 v1, v2, v1
	v_add_co_u32_e32 v4, vcc, v4, v0
	v_addc_co_u32_e32 v5, vcc, v5, v1, vcc
	global_store_dwordx2 v[4:5], v[12:13], off
	buffer_wbl2
	s_waitcnt vmcnt(0)
	global_atomic_cmpswap_x2 v[2:3], v6, v[10:13], s[8:9] offset:32 glc
	s_waitcnt vmcnt(0)
	v_cmp_ne_u64_e32 vcc, v[2:3], v[12:13]
	s_and_saveexec_b64 s[14:15], vcc
	s_cbranch_execz .LBB0_99
; %bb.97:
	s_mov_b64 s[16:17], 0
.LBB0_98:                               ; =>This Inner Loop Header: Depth=1
	s_sleep 1
	global_store_dwordx2 v[4:5], v[2:3], off
	v_mov_b32_e32 v0, s10
	v_mov_b32_e32 v1, s11
	buffer_wbl2
	s_waitcnt vmcnt(0)
	global_atomic_cmpswap_x2 v[0:1], v6, v[0:3], s[8:9] offset:32 glc
	s_waitcnt vmcnt(0)
	v_cmp_eq_u64_e32 vcc, v[0:1], v[2:3]
	s_or_b64 s[16:17], vcc, s[16:17]
	v_pk_mov_b32 v[2:3], v[0:1], v[0:1] op_sel:[0,1]
	s_andn2_b64 exec, exec, s[16:17]
	s_cbranch_execnz .LBB0_98
.LBB0_99:
	s_or_b64 exec, exec, s[14:15]
	v_mov_b32_e32 v3, 0
	global_load_dwordx2 v[0:1], v3, s[8:9] offset:16
	s_mov_b64 s[14:15], exec
	v_mbcnt_lo_u32_b32 v2, s14, 0
	v_mbcnt_hi_u32_b32 v2, s15, v2
	v_cmp_eq_u32_e32 vcc, 0, v2
	s_and_saveexec_b64 s[16:17], vcc
	s_cbranch_execz .LBB0_101
; %bb.100:
	s_bcnt1_i32_b64 s14, s[14:15]
	v_mov_b32_e32 v2, s14
	buffer_wbl2
	s_waitcnt vmcnt(0)
	global_atomic_add_x2 v[0:1], v[2:3], off offset:8
.LBB0_101:
	s_or_b64 exec, exec, s[16:17]
	s_waitcnt vmcnt(0)
	global_load_dwordx2 v[2:3], v[0:1], off offset:16
	s_waitcnt vmcnt(0)
	v_cmp_eq_u64_e32 vcc, 0, v[2:3]
	s_cbranch_vccnz .LBB0_103
; %bb.102:
	global_load_dword v0, v[0:1], off offset:24
	v_mov_b32_e32 v1, 0
	buffer_wbl2
	s_waitcnt vmcnt(0)
	global_store_dwordx2 v[2:3], v[0:1], off
	v_and_b32_e32 v0, 0xffffff, v0
	v_readfirstlane_b32 m0, v0
	s_sendmsg sendmsg(MSG_INTERRUPT)
.LBB0_103:
	s_or_b64 exec, exec, s[12:13]
	s_branch .LBB0_107
.LBB0_104:                              ;   in Loop: Header=BB0_107 Depth=1
	s_or_b64 exec, exec, s[12:13]
	v_readfirstlane_b32 s12, v0
	s_cmp_eq_u32 s12, 0
	s_cbranch_scc1 .LBB0_106
; %bb.105:                              ;   in Loop: Header=BB0_107 Depth=1
	s_sleep 1
	s_cbranch_execnz .LBB0_107
	s_branch .LBB0_110
.LBB0_106:
	s_branch .LBB0_110
.LBB0_107:                              ; =>This Inner Loop Header: Depth=1
	v_mov_b32_e32 v0, 1
	s_and_saveexec_b64 s[12:13], s[4:5]
	s_cbranch_execz .LBB0_104
; %bb.108:                              ;   in Loop: Header=BB0_107 Depth=1
	global_load_dword v0, v[8:9], off offset:20 glc
	s_waitcnt vmcnt(0)
	buffer_invl2
	buffer_wbinvl1_vol
	v_and_b32_e32 v0, 1, v0
	s_branch .LBB0_104
.LBB0_109:
	s_or_b64 exec, exec, s[6:7]
	s_waitcnt vmcnt(0) lgkmcnt(0)
	s_setpc_b64 s[30:31]
.LBB0_110:
	s_and_saveexec_b64 s[12:13], s[4:5]
	s_cbranch_execz .LBB0_113
; %bb.111:
	v_mov_b32_e32 v6, 0
	global_load_dwordx2 v[4:5], v6, s[8:9] offset:40
	global_load_dwordx2 v[8:9], v6, s[8:9] offset:24 glc
	global_load_dwordx2 v[10:11], v6, s[8:9]
	v_mov_b32_e32 v1, s11
	s_mov_b64 s[4:5], 0
	s_waitcnt vmcnt(2)
	v_add_co_u32_e32 v3, vcc, 1, v4
	v_addc_co_u32_e32 v7, vcc, 0, v5, vcc
	v_add_co_u32_e32 v0, vcc, s10, v3
	v_addc_co_u32_e32 v1, vcc, v7, v1, vcc
	v_cmp_eq_u64_e32 vcc, 0, v[0:1]
	v_cndmask_b32_e32 v1, v1, v7, vcc
	v_cndmask_b32_e32 v0, v0, v3, vcc
	v_and_b32_e32 v3, v1, v5
	v_and_b32_e32 v4, v0, v4
	v_mul_lo_u32 v3, v3, 24
	v_mul_hi_u32 v5, v4, 24
	v_mul_lo_u32 v4, v4, 24
	v_add_u32_e32 v3, v5, v3
	s_waitcnt vmcnt(0)
	v_add_co_u32_e32 v4, vcc, v10, v4
	v_addc_co_u32_e32 v5, vcc, v11, v3, vcc
	v_mov_b32_e32 v2, v8
	global_store_dwordx2 v[4:5], v[8:9], off
	v_mov_b32_e32 v3, v9
	buffer_wbl2
	s_waitcnt vmcnt(0)
	global_atomic_cmpswap_x2 v[2:3], v6, v[0:3], s[8:9] offset:24 glc
	s_waitcnt vmcnt(0)
	v_cmp_ne_u64_e32 vcc, v[2:3], v[8:9]
	s_and_b64 exec, exec, vcc
	s_cbranch_execz .LBB0_113
.LBB0_112:                              ; =>This Inner Loop Header: Depth=1
	s_sleep 1
	global_store_dwordx2 v[4:5], v[2:3], off
	buffer_wbl2
	s_waitcnt vmcnt(0)
	global_atomic_cmpswap_x2 v[8:9], v6, v[0:3], s[8:9] offset:24 glc
	s_waitcnt vmcnt(0)
	v_cmp_eq_u64_e32 vcc, v[8:9], v[2:3]
	s_or_b64 s[4:5], vcc, s[4:5]
	v_pk_mov_b32 v[2:3], v[8:9], v[8:9] op_sel:[0,1]
	s_andn2_b64 exec, exec, s[4:5]
	s_cbranch_execnz .LBB0_112
.LBB0_113:
	s_or_b64 exec, exec, s[12:13]
	s_or_b64 exec, exec, s[6:7]
	s_waitcnt vmcnt(0) lgkmcnt(0)
	s_setpc_b64 s[30:31]
.Lfunc_end0:
	.size	__ockl_fprintf_append_string_n, .Lfunc_end0-__ockl_fprintf_append_string_n
                                        ; -- End function
	.section	.AMDGPU.csdata,"",@progbits
; Function info:
; codeLenInByte = 4372
; NumSgprs: 36
; NumVgprs: 38
; NumAgprs: 0
; TotalNumVgprs: 38
; ScratchSize: 0
; MemoryBound: 0
	.text
	.p2align	2                               ; -- Begin function __assert_fail
	.type	__assert_fail,@function
__assert_fail:                          ; @__assert_fail
; %bb.0:
	s_waitcnt vmcnt(0) expcnt(0) lgkmcnt(0)
	s_mov_b32 s25, s33
	s_mov_b32 s33, s32
	s_or_saveexec_b64 s[4:5], -1
	buffer_store_dword v40, off, s[0:3], s33 offset:48 ; 4-byte Folded Spill
	s_mov_b64 exec, s[4:5]
	v_writelane_b32 v40, s30, 0
	s_addk_i32 s32, 0x1000
	v_writelane_b32 v40, s31, 1
	s_getpc_b64 s[4:5]
	s_add_u32 s4, s4, __const.__assert_fail.fmt@rel32@lo+4
	s_addc_u32 s5, s5, __const.__assert_fail.fmt@rel32@hi+12
	s_load_dwordx4 s[4:7], s[4:5], 0x0
	v_mov_b32_e32 v4, v0
	v_mov_b32_e32 v0, 0xa2e
	buffer_store_short v0, off, s[0:3], s33 offset:44
	v_mov_b32_e32 v0, 0x64656c69
	buffer_store_dword v0, off, s[0:3], s33 offset:40
	v_mov_b32_e32 v0, 0x61662027
	s_getpc_b64 s[10:11]
	s_add_u32 s10, s10, __const.__assert_fail.fmt@rel32@lo+20
	s_addc_u32 s11, s11, __const.__assert_fail.fmt@rel32@hi+28
	buffer_store_dword v0, off, s[0:3], s33 offset:36
	v_mov_b32_e32 v0, 0x73256020
	s_load_dwordx4 s[12:15], s[10:11], 0x0
	buffer_store_dword v0, off, s[0:3], s33 offset:32
	s_waitcnt lgkmcnt(0)
	v_mov_b32_e32 v0, s7
	buffer_store_dword v0, off, s[0:3], s33 offset:12
	v_mov_b32_e32 v0, s6
	buffer_store_dword v0, off, s[0:3], s33 offset:8
	v_mov_b32_e32 v0, s5
	buffer_store_dword v0, off, s[0:3], s33 offset:4
	v_mov_b32_e32 v0, s4
	buffer_store_dword v0, off, s[0:3], s33
	v_mov_b32_e32 v0, s15
	buffer_store_dword v0, off, s[0:3], s33 offset:28
	v_mov_b32_e32 v0, s14
	buffer_store_dword v0, off, s[0:3], s33 offset:24
	;; [unrolled: 2-line block ×3, first 2 shown]
	v_mov_b32_e32 v0, s12
	s_load_dwordx2 s[10:11], s[8:9], 0x50
	buffer_store_dword v0, off, s[0:3], s33 offset:16
	v_mbcnt_lo_u32_b32 v0, -1, 0
	v_mbcnt_hi_u32_b32 v37, -1, v0
	v_readfirstlane_b32 s4, v37
	v_mov_b32_e32 v5, v1
	v_mov_b32_e32 v8, 0
	v_cmp_eq_u32_e64 s[4:5], s4, v37
	v_pk_mov_b32 v[6:7], 0, 0
	buffer_store_byte v8, off, s[0:3], s33 offset:46
	s_and_saveexec_b64 s[6:7], s[4:5]
	s_cbranch_execz .LBB1_6
; %bb.1:
	s_waitcnt lgkmcnt(0)
	global_load_dwordx2 v[2:3], v8, s[10:11] offset:24 glc
	s_waitcnt vmcnt(0)
	buffer_invl2
	buffer_wbinvl1_vol
	global_load_dwordx2 v[0:1], v8, s[10:11] offset:40
	global_load_dwordx2 v[6:7], v8, s[10:11]
	s_waitcnt vmcnt(1)
	v_and_b32_e32 v0, v0, v2
	v_and_b32_e32 v1, v1, v3
	v_mul_lo_u32 v1, v1, 24
	v_mul_hi_u32 v9, v0, 24
	v_mul_lo_u32 v0, v0, 24
	v_add_u32_e32 v1, v9, v1
	s_waitcnt vmcnt(0)
	v_add_co_u32_e32 v0, vcc, v6, v0
	v_addc_co_u32_e32 v1, vcc, v7, v1, vcc
	global_load_dwordx2 v[0:1], v[0:1], off glc
	s_waitcnt vmcnt(0)
	global_atomic_cmpswap_x2 v[6:7], v8, v[0:3], s[10:11] offset:24 glc
	s_waitcnt vmcnt(0)
	buffer_invl2
	buffer_wbinvl1_vol
	v_cmp_ne_u64_e32 vcc, v[6:7], v[2:3]
	s_and_saveexec_b64 s[12:13], vcc
	s_cbranch_execz .LBB1_5
; %bb.2:
	s_mov_b64 s[14:15], 0
.LBB1_3:                                ; =>This Inner Loop Header: Depth=1
	s_sleep 1
	global_load_dwordx2 v[0:1], v8, s[10:11] offset:40
	global_load_dwordx2 v[10:11], v8, s[10:11]
	v_pk_mov_b32 v[2:3], v[6:7], v[6:7] op_sel:[0,1]
	s_waitcnt vmcnt(1)
	v_and_b32_e32 v0, v0, v2
	v_and_b32_e32 v7, v1, v3
	s_waitcnt vmcnt(0)
	v_mad_u64_u32 v[0:1], s[16:17], v0, 24, v[10:11]
	v_mov_b32_e32 v6, v1
	v_mad_u64_u32 v[6:7], s[16:17], v7, 24, v[6:7]
	v_mov_b32_e32 v1, v6
	global_load_dwordx2 v[0:1], v[0:1], off glc
	s_waitcnt vmcnt(0)
	global_atomic_cmpswap_x2 v[6:7], v8, v[0:3], s[10:11] offset:24 glc
	s_waitcnt vmcnt(0)
	buffer_invl2
	buffer_wbinvl1_vol
	v_cmp_eq_u64_e32 vcc, v[6:7], v[2:3]
	s_or_b64 s[14:15], vcc, s[14:15]
	s_andn2_b64 exec, exec, s[14:15]
	s_cbranch_execnz .LBB1_3
; %bb.4:
	s_or_b64 exec, exec, s[14:15]
.LBB1_5:
	s_or_b64 exec, exec, s[12:13]
.LBB1_6:
	s_or_b64 exec, exec, s[6:7]
	s_waitcnt lgkmcnt(0)
	global_load_dwordx2 v[10:11], v8, s[10:11] offset:40
	global_load_dwordx4 v[0:3], v8, s[10:11]
	v_readfirstlane_b32 s6, v6
	v_readfirstlane_b32 s7, v7
	s_mov_b64 s[12:13], exec
	s_waitcnt vmcnt(1)
	v_readfirstlane_b32 s14, v10
	v_readfirstlane_b32 s15, v11
	s_and_b64 s[14:15], s[6:7], s[14:15]
	s_mul_i32 s16, s15, 24
	s_mul_hi_u32 s17, s14, 24
	s_mul_i32 s18, s14, 24
	s_add_i32 s16, s17, s16
	v_mov_b32_e32 v6, s16
	s_waitcnt vmcnt(0)
	v_add_co_u32_e32 v10, vcc, s18, v0
	v_addc_co_u32_e32 v11, vcc, v1, v6, vcc
	s_and_saveexec_b64 s[16:17], s[4:5]
	s_cbranch_execz .LBB1_8
; %bb.7:
	v_pk_mov_b32 v[6:7], s[12:13], s[12:13] op_sel:[0,1]
	v_mov_b32_e32 v8, 2
	v_mov_b32_e32 v9, 1
	global_store_dwordx4 v[10:11], v[6:9], off offset:8
.LBB1_8:
	s_or_b64 exec, exec, s[16:17]
	s_lshl_b64 s[12:13], s[14:15], 12
	v_mov_b32_e32 v6, s13
	v_add_co_u32_e32 v2, vcc, s12, v2
	s_mov_b32 s12, 0
	v_addc_co_u32_e32 v3, vcc, v3, v6, vcc
	v_lshlrev_b32_e32 v36, 6, v37
	s_mov_b32 s14, s12
	s_mov_b32 s15, s12
	v_mov_b32_e32 v7, 0
	v_add_co_u32_e32 v12, vcc, v2, v36
	s_mov_b32 s13, s12
	v_pk_mov_b32 v[16:17], s[14:15], s[14:15] op_sel:[0,1]
	v_addc_co_u32_e32 v13, vcc, 0, v3, vcc
	v_mov_b32_e32 v6, 33
	v_mov_b32_e32 v8, 1
	;; [unrolled: 1-line block ×3, first 2 shown]
	v_readfirstlane_b32 s16, v2
	v_readfirstlane_b32 s17, v3
	v_pk_mov_b32 v[14:15], s[12:13], s[12:13] op_sel:[0,1]
	s_nop 3
	global_store_dwordx4 v36, v[6:9], s[16:17]
	global_store_dwordx4 v36, v[14:17], s[16:17] offset:16
	global_store_dwordx4 v36, v[14:17], s[16:17] offset:32
	global_store_dwordx4 v36, v[14:17], s[16:17] offset:48
	s_and_saveexec_b64 s[12:13], s[4:5]
	s_cbranch_execz .LBB1_16
; %bb.9:
	global_load_dwordx2 v[16:17], v7, s[10:11] offset:32 glc
	global_load_dwordx2 v[2:3], v7, s[10:11] offset:40
	v_mov_b32_e32 v14, s6
	v_mov_b32_e32 v15, s7
	s_waitcnt vmcnt(0)
	v_and_b32_e32 v2, s6, v2
	v_and_b32_e32 v3, s7, v3
	v_mul_lo_u32 v3, v3, 24
	v_mul_hi_u32 v6, v2, 24
	v_mul_lo_u32 v2, v2, 24
	v_add_u32_e32 v3, v6, v3
	v_add_co_u32_e32 v8, vcc, v0, v2
	v_addc_co_u32_e32 v9, vcc, v1, v3, vcc
	global_store_dwordx2 v[8:9], v[16:17], off
	buffer_wbl2
	s_waitcnt vmcnt(0)
	global_atomic_cmpswap_x2 v[2:3], v7, v[14:17], s[10:11] offset:32 glc
	s_waitcnt vmcnt(0)
	v_cmp_ne_u64_e32 vcc, v[2:3], v[16:17]
	s_and_saveexec_b64 s[14:15], vcc
	s_cbranch_execz .LBB1_12
; %bb.10:
	s_mov_b64 s[16:17], 0
.LBB1_11:                               ; =>This Inner Loop Header: Depth=1
	s_sleep 1
	global_store_dwordx2 v[8:9], v[2:3], off
	v_mov_b32_e32 v0, s6
	v_mov_b32_e32 v1, s7
	buffer_wbl2
	s_waitcnt vmcnt(0)
	global_atomic_cmpswap_x2 v[0:1], v7, v[0:3], s[10:11] offset:32 glc
	s_waitcnt vmcnt(0)
	v_cmp_eq_u64_e32 vcc, v[0:1], v[2:3]
	s_or_b64 s[16:17], vcc, s[16:17]
	v_pk_mov_b32 v[2:3], v[0:1], v[0:1] op_sel:[0,1]
	s_andn2_b64 exec, exec, s[16:17]
	s_cbranch_execnz .LBB1_11
.LBB1_12:
	s_or_b64 exec, exec, s[14:15]
	v_mov_b32_e32 v3, 0
	global_load_dwordx2 v[0:1], v3, s[10:11] offset:16
	s_mov_b64 s[14:15], exec
	v_mbcnt_lo_u32_b32 v2, s14, 0
	v_mbcnt_hi_u32_b32 v2, s15, v2
	v_cmp_eq_u32_e32 vcc, 0, v2
	s_and_saveexec_b64 s[16:17], vcc
	s_cbranch_execz .LBB1_14
; %bb.13:
	s_bcnt1_i32_b64 s14, s[14:15]
	v_mov_b32_e32 v2, s14
	buffer_wbl2
	s_waitcnt vmcnt(0)
	global_atomic_add_x2 v[0:1], v[2:3], off offset:8
.LBB1_14:
	s_or_b64 exec, exec, s[16:17]
	s_waitcnt vmcnt(0)
	global_load_dwordx2 v[2:3], v[0:1], off offset:16
	s_waitcnt vmcnt(0)
	v_cmp_eq_u64_e32 vcc, 0, v[2:3]
	s_cbranch_vccnz .LBB1_16
; %bb.15:
	global_load_dword v0, v[0:1], off offset:24
	v_mov_b32_e32 v1, 0
	buffer_wbl2
	s_waitcnt vmcnt(0)
	global_store_dwordx2 v[2:3], v[0:1], off
	v_and_b32_e32 v0, 0xffffff, v0
	v_readfirstlane_b32 m0, v0
	s_sendmsg sendmsg(MSG_INTERRUPT)
.LBB1_16:
	s_or_b64 exec, exec, s[12:13]
	s_branch .LBB1_20
.LBB1_17:                               ;   in Loop: Header=BB1_20 Depth=1
	s_or_b64 exec, exec, s[12:13]
	v_readfirstlane_b32 s12, v0
	s_cmp_eq_u32 s12, 0
	s_cbranch_scc1 .LBB1_19
; %bb.18:                               ;   in Loop: Header=BB1_20 Depth=1
	s_sleep 1
	s_cbranch_execnz .LBB1_20
	s_branch .LBB1_22
.LBB1_19:
	s_branch .LBB1_22
.LBB1_20:                               ; =>This Inner Loop Header: Depth=1
	v_mov_b32_e32 v0, 1
	s_and_saveexec_b64 s[12:13], s[4:5]
	s_cbranch_execz .LBB1_17
; %bb.21:                               ;   in Loop: Header=BB1_20 Depth=1
	global_load_dword v0, v[10:11], off offset:20 glc
	s_waitcnt vmcnt(0)
	buffer_invl2
	buffer_wbinvl1_vol
	v_and_b32_e32 v0, 1, v0
	s_branch .LBB1_17
.LBB1_22:
	global_load_dwordx2 v[6:7], v[12:13], off
	s_and_saveexec_b64 s[12:13], s[4:5]
	s_cbranch_execz .LBB1_25
; %bb.23:
	v_mov_b32_e32 v10, 0
	global_load_dwordx2 v[8:9], v10, s[10:11] offset:40
	global_load_dwordx2 v[12:13], v10, s[10:11] offset:24 glc
	global_load_dwordx2 v[14:15], v10, s[10:11]
	v_mov_b32_e32 v1, s7
	s_mov_b64 s[4:5], 0
	s_waitcnt vmcnt(2)
	v_add_co_u32_e32 v3, vcc, 1, v8
	v_addc_co_u32_e32 v11, vcc, 0, v9, vcc
	v_add_co_u32_e32 v0, vcc, s6, v3
	v_addc_co_u32_e32 v1, vcc, v11, v1, vcc
	v_cmp_eq_u64_e32 vcc, 0, v[0:1]
	v_cndmask_b32_e32 v1, v1, v11, vcc
	v_cndmask_b32_e32 v0, v0, v3, vcc
	v_and_b32_e32 v3, v1, v9
	v_and_b32_e32 v8, v0, v8
	v_mul_lo_u32 v3, v3, 24
	v_mul_hi_u32 v9, v8, 24
	v_mul_lo_u32 v8, v8, 24
	v_add_u32_e32 v3, v9, v3
	s_waitcnt vmcnt(0)
	v_add_co_u32_e32 v8, vcc, v14, v8
	v_addc_co_u32_e32 v9, vcc, v15, v3, vcc
	v_mov_b32_e32 v2, v12
	global_store_dwordx2 v[8:9], v[12:13], off
	v_mov_b32_e32 v3, v13
	buffer_wbl2
	s_waitcnt vmcnt(0)
	global_atomic_cmpswap_x2 v[2:3], v10, v[0:3], s[10:11] offset:24 glc
	s_waitcnt vmcnt(0)
	v_cmp_ne_u64_e32 vcc, v[2:3], v[12:13]
	s_and_b64 exec, exec, vcc
	s_cbranch_execz .LBB1_25
.LBB1_24:                               ; =>This Inner Loop Header: Depth=1
	s_sleep 1
	global_store_dwordx2 v[8:9], v[2:3], off
	buffer_wbl2
	s_waitcnt vmcnt(0)
	global_atomic_cmpswap_x2 v[12:13], v10, v[0:3], s[10:11] offset:24 glc
	s_waitcnt vmcnt(0)
	v_cmp_eq_u64_e32 vcc, v[12:13], v[2:3]
	s_or_b64 s[4:5], vcc, s[4:5]
	v_pk_mov_b32 v[2:3], v[12:13], v[12:13] op_sel:[0,1]
	s_andn2_b64 exec, exec, s[4:5]
	s_cbranch_execnz .LBB1_24
.LBB1_25:
	s_or_b64 exec, exec, s[12:13]
	v_lshrrev_b32_e64 v1, 6, s33
	s_mov_b64 s[4:5], 0
.LBB1_26:                               ; =>This Inner Loop Header: Depth=1
	buffer_load_ubyte v2, v1, s[0:3], 0 offen
	v_add_u32_e32 v0, 1, v1
	v_mov_b32_e32 v1, v0
	s_waitcnt vmcnt(0)
	v_cmp_eq_u16_e32 vcc, 0, v2
	s_or_b64 s[4:5], vcc, s[4:5]
	s_andn2_b64 exec, exec, s[4:5]
	s_cbranch_execnz .LBB1_26
; %bb.27:
	s_or_b64 exec, exec, s[4:5]
	v_lshrrev_b32_e64 v31, 6, s33
	v_cmp_ne_u32_e32 vcc, -1, v31
	s_cbranch_vccz .LBB1_112
; %bb.28:
	v_lshrrev_b32_e64 v1, 6, s33
	v_subrev_u32_e32 v28, v1, v0
	v_ashrrev_i32_e32 v29, 31, v28
	v_and_b32_e32 v30, 2, v6
	v_mov_b32_e32 v33, 0
	v_and_b32_e32 v0, -3, v6
	v_mov_b32_e32 v1, v7
	s_mov_b64 s[12:13], 0
	s_mov_b32 s20, 0
	s_movk_i32 s21, 0xff1f
	v_mov_b32_e32 v10, 2
	v_mov_b32_e32 v11, 1
	s_branch .LBB1_30
.LBB1_29:                               ;   in Loop: Header=BB1_30 Depth=1
	s_or_b64 exec, exec, s[6:7]
	v_sub_co_u32_e32 v28, vcc, v28, v38
	v_subb_co_u32_e32 v29, vcc, v29, v39, vcc
	v_cmp_eq_u64_e32 vcc, 0, v[28:29]
	s_or_b64 s[12:13], vcc, s[12:13]
	v_add_u32_e32 v31, v31, v38
	s_andn2_b64 exec, exec, s[12:13]
	s_cbranch_execz .LBB1_113
.LBB1_30:                               ; =>This Loop Header: Depth=1
                                        ;     Child Loop BB1_33 Depth 2
                                        ;     Child Loop BB1_41 Depth 2
	;; [unrolled: 1-line block ×11, first 2 shown]
	v_cmp_gt_u64_e32 vcc, 56, v[28:29]
	v_cndmask_b32_e32 v38, 56, v28, vcc
	v_cmp_gt_u64_e64 s[4:5], 8, v[28:29]
                                        ; implicit-def: $vgpr2_vgpr3
                                        ; implicit-def: $sgpr14
	s_and_saveexec_b64 s[6:7], s[4:5]
	s_xor_b64 s[6:7], exec, s[6:7]
	s_cbranch_execz .LBB1_36
; %bb.31:                               ;   in Loop: Header=BB1_30 Depth=1
	s_mov_b64 s[16:17], 0
	v_cmp_ne_u64_e64 s[4:5], 0, v[28:29]
	s_waitcnt vmcnt(0)
	v_pk_mov_b32 v[2:3], 0, 0
	s_and_saveexec_b64 s[14:15], s[4:5]
	s_cbranch_execz .LBB1_35
; %bb.32:                               ;   in Loop: Header=BB1_30 Depth=1
	s_mov_b32 s22, 0
	v_pk_mov_b32 v[2:3], 0, 0
	s_mov_b64 s[18:19], 0
.LBB1_33:                               ;   Parent Loop BB1_30 Depth=1
                                        ; =>  This Inner Loop Header: Depth=2
	v_add_u32_e32 v8, s22, v31
	buffer_load_ubyte v8, v8, s[0:3], 0 offen
	v_mov_b32_e32 v9, s20
	s_add_i32 s22, s22, 1
	v_cmp_eq_u32_e64 s[4:5], s22, v38
	s_waitcnt vmcnt(0)
	v_and_b32_e32 v8, 0xffff, v8
	v_lshlrev_b64 v[8:9], s18, v[8:9]
	s_add_u32 s18, s18, 8
	s_addc_u32 s19, s19, 0
	v_or_b32_e32 v3, v9, v3
	s_or_b64 s[16:17], s[4:5], s[16:17]
	v_or_b32_e32 v2, v8, v2
	s_andn2_b64 exec, exec, s[16:17]
	s_cbranch_execnz .LBB1_33
; %bb.34:                               ;   in Loop: Header=BB1_30 Depth=1
	s_or_b64 exec, exec, s[16:17]
.LBB1_35:                               ;   in Loop: Header=BB1_30 Depth=1
	s_or_b64 exec, exec, s[14:15]
	s_mov_b32 s14, 0
.LBB1_36:                               ;   in Loop: Header=BB1_30 Depth=1
	s_or_saveexec_b64 s[4:5], s[6:7]
	v_mov_b32_e32 v9, s14
	v_mov_b32_e32 v8, v31
	s_xor_b64 exec, exec, s[4:5]
	s_cbranch_execz .LBB1_38
; %bb.37:                               ;   in Loop: Header=BB1_30 Depth=1
	buffer_load_dword v2, v31, s[0:3], 0 offen offset:4
	buffer_load_dword v3, v31, s[0:3], 0 offen
	v_add_u32_e32 v9, -8, v38
	s_waitcnt vmcnt(1)
	v_and_b32_e32 v8, 0xff, v2
	v_and_b32_e32 v12, 0xff00, v2
	s_waitcnt vmcnt(0)
	v_or3_b32 v3, v3, 0, 0
	v_and_b32_e32 v13, 0xff0000, v2
	v_and_b32_e32 v14, 0xff000000, v2
	v_or3_b32 v8, 0, v8, v12
	v_or3_b32 v2, v3, 0, 0
	;; [unrolled: 1-line block ×3, first 2 shown]
	v_add_u32_e32 v8, 8, v31
.LBB1_38:                               ;   in Loop: Header=BB1_30 Depth=1
	s_or_b64 exec, exec, s[4:5]
	v_cmp_gt_u32_e64 s[4:5], 8, v9
                                        ; implicit-def: $vgpr12_vgpr13
                                        ; implicit-def: $sgpr14
	s_and_saveexec_b64 s[6:7], s[4:5]
	s_xor_b64 s[6:7], exec, s[6:7]
	s_cbranch_execz .LBB1_44
; %bb.39:                               ;   in Loop: Header=BB1_30 Depth=1
	v_cmp_ne_u32_e64 s[4:5], 0, v9
	v_pk_mov_b32 v[12:13], 0, 0
	s_and_saveexec_b64 s[14:15], s[4:5]
	s_cbranch_execz .LBB1_43
; %bb.40:                               ;   in Loop: Header=BB1_30 Depth=1
	s_mov_b32 s22, 0
	s_mov_b64 s[16:17], 0
	v_pk_mov_b32 v[12:13], 0, 0
	s_mov_b64 s[18:19], 0
.LBB1_41:                               ;   Parent Loop BB1_30 Depth=1
                                        ; =>  This Inner Loop Header: Depth=2
	v_add_u32_e32 v14, s22, v8
	buffer_load_ubyte v14, v14, s[0:3], 0 offen
	v_mov_b32_e32 v15, s20
	s_add_i32 s22, s22, 1
	v_cmp_eq_u32_e64 s[4:5], s22, v9
	s_waitcnt vmcnt(0)
	v_and_b32_e32 v14, 0xffff, v14
	v_lshlrev_b64 v[14:15], s18, v[14:15]
	s_add_u32 s18, s18, 8
	s_addc_u32 s19, s19, 0
	v_or_b32_e32 v13, v15, v13
	s_or_b64 s[16:17], s[4:5], s[16:17]
	v_or_b32_e32 v12, v14, v12
	s_andn2_b64 exec, exec, s[16:17]
	s_cbranch_execnz .LBB1_41
; %bb.42:                               ;   in Loop: Header=BB1_30 Depth=1
	s_or_b64 exec, exec, s[16:17]
.LBB1_43:                               ;   in Loop: Header=BB1_30 Depth=1
	s_or_b64 exec, exec, s[14:15]
	s_mov_b32 s14, 0
                                        ; implicit-def: $vgpr9
.LBB1_44:                               ;   in Loop: Header=BB1_30 Depth=1
	s_or_saveexec_b64 s[4:5], s[6:7]
	v_mov_b32_e32 v16, s14
	s_xor_b64 exec, exec, s[4:5]
	s_cbranch_execz .LBB1_46
; %bb.45:                               ;   in Loop: Header=BB1_30 Depth=1
	buffer_load_dword v12, v8, s[0:3], 0 offen offset:4
	buffer_load_dword v13, v8, s[0:3], 0 offen
	v_add_u32_e32 v16, -8, v9
	v_add_u32_e32 v8, 8, v8
	s_waitcnt vmcnt(1)
	v_and_b32_e32 v9, 0xff, v12
	v_and_b32_e32 v14, 0xff00, v12
	s_waitcnt vmcnt(0)
	v_or3_b32 v13, v13, 0, 0
	v_and_b32_e32 v15, 0xff0000, v12
	v_and_b32_e32 v17, 0xff000000, v12
	v_or3_b32 v9, 0, v9, v14
	v_or3_b32 v12, v13, 0, 0
	;; [unrolled: 1-line block ×3, first 2 shown]
.LBB1_46:                               ;   in Loop: Header=BB1_30 Depth=1
	s_or_b64 exec, exec, s[4:5]
	v_cmp_gt_u32_e64 s[4:5], 8, v16
                                        ; implicit-def: $sgpr14
	s_and_saveexec_b64 s[6:7], s[4:5]
	s_xor_b64 s[6:7], exec, s[6:7]
	s_cbranch_execz .LBB1_52
; %bb.47:                               ;   in Loop: Header=BB1_30 Depth=1
	v_cmp_ne_u32_e64 s[4:5], 0, v16
	v_pk_mov_b32 v[14:15], 0, 0
	s_and_saveexec_b64 s[14:15], s[4:5]
	s_cbranch_execz .LBB1_51
; %bb.48:                               ;   in Loop: Header=BB1_30 Depth=1
	s_mov_b32 s22, 0
	s_mov_b64 s[16:17], 0
	v_pk_mov_b32 v[14:15], 0, 0
	s_mov_b64 s[18:19], 0
.LBB1_49:                               ;   Parent Loop BB1_30 Depth=1
                                        ; =>  This Inner Loop Header: Depth=2
	v_add_u32_e32 v9, s22, v8
	buffer_load_ubyte v9, v9, s[0:3], 0 offen
	v_mov_b32_e32 v19, s20
	s_add_i32 s22, s22, 1
	v_cmp_eq_u32_e64 s[4:5], s22, v16
	s_waitcnt vmcnt(0)
	v_and_b32_e32 v18, 0xffff, v9
	v_lshlrev_b64 v[18:19], s18, v[18:19]
	s_add_u32 s18, s18, 8
	s_addc_u32 s19, s19, 0
	v_or_b32_e32 v15, v19, v15
	s_or_b64 s[16:17], s[4:5], s[16:17]
	v_or_b32_e32 v14, v18, v14
	s_andn2_b64 exec, exec, s[16:17]
	s_cbranch_execnz .LBB1_49
; %bb.50:                               ;   in Loop: Header=BB1_30 Depth=1
	s_or_b64 exec, exec, s[16:17]
.LBB1_51:                               ;   in Loop: Header=BB1_30 Depth=1
	s_or_b64 exec, exec, s[14:15]
	s_mov_b32 s14, 0
                                        ; implicit-def: $vgpr16
.LBB1_52:                               ;   in Loop: Header=BB1_30 Depth=1
	s_or_saveexec_b64 s[4:5], s[6:7]
	v_mov_b32_e32 v9, s14
	s_xor_b64 exec, exec, s[4:5]
	s_cbranch_execz .LBB1_54
; %bb.53:                               ;   in Loop: Header=BB1_30 Depth=1
	buffer_load_dword v14, v8, s[0:3], 0 offen offset:4
	buffer_load_dword v15, v8, s[0:3], 0 offen
	v_add_u32_e32 v9, -8, v16
	v_add_u32_e32 v8, 8, v8
	s_waitcnt vmcnt(1)
	v_and_b32_e32 v16, 0xff, v14
	v_and_b32_e32 v17, 0xff00, v14
	s_waitcnt vmcnt(0)
	v_or3_b32 v15, v15, 0, 0
	v_and_b32_e32 v18, 0xff0000, v14
	v_and_b32_e32 v19, 0xff000000, v14
	v_or3_b32 v16, 0, v16, v17
	v_or3_b32 v14, v15, 0, 0
	;; [unrolled: 1-line block ×3, first 2 shown]
.LBB1_54:                               ;   in Loop: Header=BB1_30 Depth=1
	s_or_b64 exec, exec, s[4:5]
	v_cmp_gt_u32_e64 s[4:5], 8, v9
                                        ; implicit-def: $vgpr16_vgpr17
                                        ; implicit-def: $sgpr14
	s_and_saveexec_b64 s[6:7], s[4:5]
	s_xor_b64 s[6:7], exec, s[6:7]
	s_cbranch_execz .LBB1_60
; %bb.55:                               ;   in Loop: Header=BB1_30 Depth=1
	v_cmp_ne_u32_e64 s[4:5], 0, v9
	v_pk_mov_b32 v[16:17], 0, 0
	s_and_saveexec_b64 s[14:15], s[4:5]
	s_cbranch_execz .LBB1_59
; %bb.56:                               ;   in Loop: Header=BB1_30 Depth=1
	s_mov_b32 s22, 0
	s_mov_b64 s[16:17], 0
	v_pk_mov_b32 v[16:17], 0, 0
	s_mov_b64 s[18:19], 0
.LBB1_57:                               ;   Parent Loop BB1_30 Depth=1
                                        ; =>  This Inner Loop Header: Depth=2
	v_add_u32_e32 v18, s22, v8
	buffer_load_ubyte v18, v18, s[0:3], 0 offen
	v_mov_b32_e32 v19, s20
	s_add_i32 s22, s22, 1
	v_cmp_eq_u32_e64 s[4:5], s22, v9
	s_waitcnt vmcnt(0)
	v_and_b32_e32 v18, 0xffff, v18
	v_lshlrev_b64 v[18:19], s18, v[18:19]
	s_add_u32 s18, s18, 8
	s_addc_u32 s19, s19, 0
	v_or_b32_e32 v17, v19, v17
	s_or_b64 s[16:17], s[4:5], s[16:17]
	v_or_b32_e32 v16, v18, v16
	s_andn2_b64 exec, exec, s[16:17]
	s_cbranch_execnz .LBB1_57
; %bb.58:                               ;   in Loop: Header=BB1_30 Depth=1
	s_or_b64 exec, exec, s[16:17]
.LBB1_59:                               ;   in Loop: Header=BB1_30 Depth=1
	s_or_b64 exec, exec, s[14:15]
	s_mov_b32 s14, 0
                                        ; implicit-def: $vgpr9
.LBB1_60:                               ;   in Loop: Header=BB1_30 Depth=1
	s_or_saveexec_b64 s[4:5], s[6:7]
	v_mov_b32_e32 v20, s14
	s_xor_b64 exec, exec, s[4:5]
	s_cbranch_execz .LBB1_62
; %bb.61:                               ;   in Loop: Header=BB1_30 Depth=1
	buffer_load_dword v16, v8, s[0:3], 0 offen offset:4
	buffer_load_dword v17, v8, s[0:3], 0 offen
	v_add_u32_e32 v20, -8, v9
	v_add_u32_e32 v8, 8, v8
	s_waitcnt vmcnt(1)
	v_and_b32_e32 v9, 0xff, v16
	v_and_b32_e32 v18, 0xff00, v16
	s_waitcnt vmcnt(0)
	v_or3_b32 v17, v17, 0, 0
	v_and_b32_e32 v19, 0xff0000, v16
	v_and_b32_e32 v21, 0xff000000, v16
	v_or3_b32 v9, 0, v9, v18
	v_or3_b32 v16, v17, 0, 0
	v_or3_b32 v17, v9, v19, v21
.LBB1_62:                               ;   in Loop: Header=BB1_30 Depth=1
	s_or_b64 exec, exec, s[4:5]
	v_cmp_gt_u32_e64 s[4:5], 8, v20
                                        ; implicit-def: $sgpr14
	s_and_saveexec_b64 s[6:7], s[4:5]
	s_xor_b64 s[6:7], exec, s[6:7]
	s_cbranch_execz .LBB1_68
; %bb.63:                               ;   in Loop: Header=BB1_30 Depth=1
	v_cmp_ne_u32_e64 s[4:5], 0, v20
	v_pk_mov_b32 v[18:19], 0, 0
	s_and_saveexec_b64 s[14:15], s[4:5]
	s_cbranch_execz .LBB1_67
; %bb.64:                               ;   in Loop: Header=BB1_30 Depth=1
	s_mov_b32 s22, 0
	s_mov_b64 s[16:17], 0
	v_pk_mov_b32 v[18:19], 0, 0
	s_mov_b64 s[18:19], 0
.LBB1_65:                               ;   Parent Loop BB1_30 Depth=1
                                        ; =>  This Inner Loop Header: Depth=2
	v_add_u32_e32 v9, s22, v8
	buffer_load_ubyte v9, v9, s[0:3], 0 offen
	v_mov_b32_e32 v23, s20
	s_add_i32 s22, s22, 1
	v_cmp_eq_u32_e64 s[4:5], s22, v20
	s_waitcnt vmcnt(0)
	v_and_b32_e32 v22, 0xffff, v9
	v_lshlrev_b64 v[22:23], s18, v[22:23]
	s_add_u32 s18, s18, 8
	s_addc_u32 s19, s19, 0
	v_or_b32_e32 v19, v23, v19
	s_or_b64 s[16:17], s[4:5], s[16:17]
	v_or_b32_e32 v18, v22, v18
	s_andn2_b64 exec, exec, s[16:17]
	s_cbranch_execnz .LBB1_65
; %bb.66:                               ;   in Loop: Header=BB1_30 Depth=1
	s_or_b64 exec, exec, s[16:17]
.LBB1_67:                               ;   in Loop: Header=BB1_30 Depth=1
	s_or_b64 exec, exec, s[14:15]
	s_mov_b32 s14, 0
                                        ; implicit-def: $vgpr20
.LBB1_68:                               ;   in Loop: Header=BB1_30 Depth=1
	s_or_saveexec_b64 s[4:5], s[6:7]
	v_mov_b32_e32 v9, s14
	s_xor_b64 exec, exec, s[4:5]
	s_cbranch_execz .LBB1_70
; %bb.69:                               ;   in Loop: Header=BB1_30 Depth=1
	buffer_load_dword v18, v8, s[0:3], 0 offen offset:4
	buffer_load_dword v19, v8, s[0:3], 0 offen
	v_add_u32_e32 v9, -8, v20
	v_add_u32_e32 v8, 8, v8
	s_waitcnt vmcnt(1)
	v_and_b32_e32 v20, 0xff, v18
	v_and_b32_e32 v21, 0xff00, v18
	s_waitcnt vmcnt(0)
	v_or3_b32 v19, v19, 0, 0
	v_and_b32_e32 v22, 0xff0000, v18
	v_and_b32_e32 v23, 0xff000000, v18
	v_or3_b32 v20, 0, v20, v21
	v_or3_b32 v18, v19, 0, 0
	v_or3_b32 v19, v20, v22, v23
.LBB1_70:                               ;   in Loop: Header=BB1_30 Depth=1
	s_or_b64 exec, exec, s[4:5]
	v_cmp_gt_u32_e64 s[4:5], 8, v9
                                        ; implicit-def: $vgpr20_vgpr21
                                        ; implicit-def: $sgpr14
	s_and_saveexec_b64 s[6:7], s[4:5]
	s_xor_b64 s[6:7], exec, s[6:7]
	s_cbranch_execz .LBB1_76
; %bb.71:                               ;   in Loop: Header=BB1_30 Depth=1
	v_cmp_ne_u32_e64 s[4:5], 0, v9
	v_pk_mov_b32 v[20:21], 0, 0
	s_and_saveexec_b64 s[14:15], s[4:5]
	s_cbranch_execz .LBB1_75
; %bb.72:                               ;   in Loop: Header=BB1_30 Depth=1
	s_mov_b32 s22, 0
	s_mov_b64 s[16:17], 0
	v_pk_mov_b32 v[20:21], 0, 0
	s_mov_b64 s[18:19], 0
.LBB1_73:                               ;   Parent Loop BB1_30 Depth=1
                                        ; =>  This Inner Loop Header: Depth=2
	v_add_u32_e32 v22, s22, v8
	buffer_load_ubyte v22, v22, s[0:3], 0 offen
	v_mov_b32_e32 v23, s20
	s_add_i32 s22, s22, 1
	v_cmp_eq_u32_e64 s[4:5], s22, v9
	s_waitcnt vmcnt(0)
	v_and_b32_e32 v22, 0xffff, v22
	v_lshlrev_b64 v[22:23], s18, v[22:23]
	s_add_u32 s18, s18, 8
	s_addc_u32 s19, s19, 0
	v_or_b32_e32 v21, v23, v21
	s_or_b64 s[16:17], s[4:5], s[16:17]
	v_or_b32_e32 v20, v22, v20
	s_andn2_b64 exec, exec, s[16:17]
	s_cbranch_execnz .LBB1_73
; %bb.74:                               ;   in Loop: Header=BB1_30 Depth=1
	s_or_b64 exec, exec, s[16:17]
.LBB1_75:                               ;   in Loop: Header=BB1_30 Depth=1
	s_or_b64 exec, exec, s[14:15]
	s_mov_b32 s14, 0
                                        ; implicit-def: $vgpr9
.LBB1_76:                               ;   in Loop: Header=BB1_30 Depth=1
	s_or_saveexec_b64 s[4:5], s[6:7]
	v_mov_b32_e32 v24, s14
	s_xor_b64 exec, exec, s[4:5]
	s_cbranch_execz .LBB1_78
; %bb.77:                               ;   in Loop: Header=BB1_30 Depth=1
	buffer_load_dword v20, v8, s[0:3], 0 offen offset:4
	buffer_load_dword v21, v8, s[0:3], 0 offen
	v_add_u32_e32 v24, -8, v9
	v_add_u32_e32 v8, 8, v8
	s_waitcnt vmcnt(1)
	v_and_b32_e32 v9, 0xff, v20
	v_and_b32_e32 v22, 0xff00, v20
	s_waitcnt vmcnt(0)
	v_or3_b32 v21, v21, 0, 0
	v_and_b32_e32 v23, 0xff0000, v20
	v_and_b32_e32 v25, 0xff000000, v20
	v_or3_b32 v9, 0, v9, v22
	v_or3_b32 v20, v21, 0, 0
	;; [unrolled: 1-line block ×3, first 2 shown]
.LBB1_78:                               ;   in Loop: Header=BB1_30 Depth=1
	s_or_b64 exec, exec, s[4:5]
	v_cmp_gt_u32_e64 s[4:5], 8, v24
	s_and_saveexec_b64 s[6:7], s[4:5]
	s_xor_b64 s[6:7], exec, s[6:7]
	s_cbranch_execz .LBB1_84
; %bb.79:                               ;   in Loop: Header=BB1_30 Depth=1
	v_cmp_ne_u32_e64 s[4:5], 0, v24
	v_pk_mov_b32 v[22:23], 0, 0
	s_and_saveexec_b64 s[14:15], s[4:5]
	s_cbranch_execz .LBB1_83
; %bb.80:                               ;   in Loop: Header=BB1_30 Depth=1
	s_mov_b64 s[16:17], 0
	v_pk_mov_b32 v[22:23], 0, 0
	s_mov_b64 s[18:19], 0
.LBB1_81:                               ;   Parent Loop BB1_30 Depth=1
                                        ; =>  This Inner Loop Header: Depth=2
	buffer_load_ubyte v9, v8, s[0:3], 0 offen
	v_mov_b32_e32 v27, s20
	v_add_u32_e32 v24, -1, v24
	v_cmp_eq_u32_e64 s[4:5], 0, v24
	v_add_u32_e32 v8, 1, v8
	s_waitcnt vmcnt(0)
	v_and_b32_e32 v26, 0xffff, v9
	v_lshlrev_b64 v[26:27], s18, v[26:27]
	s_add_u32 s18, s18, 8
	s_addc_u32 s19, s19, 0
	v_or_b32_e32 v23, v27, v23
	s_or_b64 s[16:17], s[4:5], s[16:17]
	v_or_b32_e32 v22, v26, v22
	s_andn2_b64 exec, exec, s[16:17]
	s_cbranch_execnz .LBB1_81
; %bb.82:                               ;   in Loop: Header=BB1_30 Depth=1
	s_or_b64 exec, exec, s[16:17]
.LBB1_83:                               ;   in Loop: Header=BB1_30 Depth=1
	s_or_b64 exec, exec, s[14:15]
                                        ; implicit-def: $vgpr8
.LBB1_84:                               ;   in Loop: Header=BB1_30 Depth=1
	s_andn2_saveexec_b64 s[4:5], s[6:7]
	s_cbranch_execz .LBB1_86
; %bb.85:                               ;   in Loop: Header=BB1_30 Depth=1
	buffer_load_dword v9, v8, s[0:3], 0 offen offset:4
	buffer_load_dword v22, v8, s[0:3], 0 offen
	s_waitcnt vmcnt(1)
	v_and_b32_e32 v8, 0xff, v9
	v_and_b32_e32 v23, 0xff00, v9
	s_waitcnt vmcnt(0)
	v_or3_b32 v22, v22, 0, 0
	v_and_b32_e32 v24, 0xff0000, v9
	v_and_b32_e32 v9, 0xff000000, v9
	v_or3_b32 v8, 0, v8, v23
	v_or3_b32 v23, v8, v24, v9
	;; [unrolled: 1-line block ×3, first 2 shown]
.LBB1_86:                               ;   in Loop: Header=BB1_30 Depth=1
	s_or_b64 exec, exec, s[4:5]
	v_readfirstlane_b32 s4, v37
	v_cmp_eq_u32_e64 s[4:5], s4, v37
	v_pk_mov_b32 v[8:9], 0, 0
	s_and_saveexec_b64 s[14:15], s[4:5]
	s_cbranch_execz .LBB1_92
; %bb.87:                               ;   in Loop: Header=BB1_30 Depth=1
	global_load_dwordx2 v[26:27], v33, s[10:11] offset:24 glc
	s_waitcnt vmcnt(0)
	buffer_invl2
	buffer_wbinvl1_vol
	global_load_dwordx2 v[8:9], v33, s[10:11] offset:40
	global_load_dwordx2 v[24:25], v33, s[10:11]
	s_waitcnt vmcnt(1)
	v_and_b32_e32 v8, v8, v26
	v_and_b32_e32 v9, v9, v27
	v_mul_lo_u32 v9, v9, 24
	v_mul_hi_u32 v32, v8, 24
	v_mul_lo_u32 v8, v8, 24
	v_add_u32_e32 v9, v32, v9
	s_waitcnt vmcnt(0)
	v_add_co_u32_e64 v8, s[6:7], v24, v8
	v_addc_co_u32_e64 v9, s[6:7], v25, v9, s[6:7]
	global_load_dwordx2 v[24:25], v[8:9], off glc
	s_waitcnt vmcnt(0)
	global_atomic_cmpswap_x2 v[8:9], v33, v[24:27], s[10:11] offset:24 glc
	s_waitcnt vmcnt(0)
	buffer_invl2
	buffer_wbinvl1_vol
	v_cmp_ne_u64_e64 s[6:7], v[8:9], v[26:27]
	s_and_saveexec_b64 s[16:17], s[6:7]
	s_cbranch_execz .LBB1_91
; %bb.88:                               ;   in Loop: Header=BB1_30 Depth=1
	s_mov_b64 s[18:19], 0
.LBB1_89:                               ;   Parent Loop BB1_30 Depth=1
                                        ; =>  This Inner Loop Header: Depth=2
	s_sleep 1
	global_load_dwordx2 v[24:25], v33, s[10:11] offset:40
	global_load_dwordx2 v[34:35], v33, s[10:11]
	v_pk_mov_b32 v[26:27], v[8:9], v[8:9] op_sel:[0,1]
	s_waitcnt vmcnt(1)
	v_and_b32_e32 v8, v24, v26
	s_waitcnt vmcnt(0)
	v_mad_u64_u32 v[8:9], s[6:7], v8, 24, v[34:35]
	v_and_b32_e32 v25, v25, v27
	v_mov_b32_e32 v24, v9
	v_mad_u64_u32 v[24:25], s[6:7], v25, 24, v[24:25]
	v_mov_b32_e32 v9, v24
	global_load_dwordx2 v[24:25], v[8:9], off glc
	s_waitcnt vmcnt(0)
	global_atomic_cmpswap_x2 v[8:9], v33, v[24:27], s[10:11] offset:24 glc
	s_waitcnt vmcnt(0)
	buffer_invl2
	buffer_wbinvl1_vol
	v_cmp_eq_u64_e64 s[6:7], v[8:9], v[26:27]
	s_or_b64 s[18:19], s[6:7], s[18:19]
	s_andn2_b64 exec, exec, s[18:19]
	s_cbranch_execnz .LBB1_89
; %bb.90:                               ;   in Loop: Header=BB1_30 Depth=1
	s_or_b64 exec, exec, s[18:19]
.LBB1_91:                               ;   in Loop: Header=BB1_30 Depth=1
	s_or_b64 exec, exec, s[16:17]
.LBB1_92:                               ;   in Loop: Header=BB1_30 Depth=1
	s_or_b64 exec, exec, s[14:15]
	global_load_dwordx2 v[34:35], v33, s[10:11] offset:40
	global_load_dwordx4 v[24:27], v33, s[10:11]
	v_readfirstlane_b32 s14, v8
	v_readfirstlane_b32 s15, v9
	s_mov_b64 s[16:17], exec
	s_waitcnt vmcnt(1)
	v_readfirstlane_b32 s6, v34
	v_readfirstlane_b32 s7, v35
	s_and_b64 s[18:19], s[14:15], s[6:7]
	s_mul_i32 s6, s19, 24
	s_mul_hi_u32 s7, s18, 24
	s_mul_i32 s22, s18, 24
	s_add_i32 s6, s7, s6
	v_mov_b32_e32 v8, s6
	s_waitcnt vmcnt(0)
	v_add_co_u32_e64 v34, s[6:7], s22, v24
	v_addc_co_u32_e64 v35, s[6:7], v25, v8, s[6:7]
	s_and_saveexec_b64 s[6:7], s[4:5]
	s_cbranch_execz .LBB1_94
; %bb.93:                               ;   in Loop: Header=BB1_30 Depth=1
	v_pk_mov_b32 v[8:9], s[16:17], s[16:17] op_sel:[0,1]
	global_store_dwordx4 v[34:35], v[8:11], off offset:8
.LBB1_94:                               ;   in Loop: Header=BB1_30 Depth=1
	s_or_b64 exec, exec, s[6:7]
	s_lshl_b64 s[6:7], s[18:19], 12
	v_cndmask_b32_e32 v39, 0, v29, vcc
	v_mov_b32_e32 v9, s7
	v_add_co_u32_e32 v8, vcc, s6, v26
	v_addc_co_u32_e32 v9, vcc, v27, v9, vcc
	v_or_b32_e32 v26, 0, v1
	v_cmp_lt_u64_e32 vcc, 56, v[28:29]
	v_or_b32_e32 v27, v0, v30
	v_cndmask_b32_e32 v1, v26, v1, vcc
	v_lshl_add_u32 v26, v38, 2, 28
	v_cndmask_b32_e32 v0, v27, v0, vcc
	v_and_b32_e32 v26, 0x1e0, v26
	v_and_or_b32 v0, v0, s21, v26
	v_readfirstlane_b32 s6, v8
	v_readfirstlane_b32 s7, v9
	s_nop 4
	global_store_dwordx4 v36, v[0:3], s[6:7]
	global_store_dwordx4 v36, v[12:15], s[6:7] offset:16
	global_store_dwordx4 v36, v[16:19], s[6:7] offset:32
	;; [unrolled: 1-line block ×3, first 2 shown]
	s_and_saveexec_b64 s[6:7], s[4:5]
	s_cbranch_execz .LBB1_102
; %bb.95:                               ;   in Loop: Header=BB1_30 Depth=1
	global_load_dwordx2 v[16:17], v33, s[10:11] offset:32 glc
	global_load_dwordx2 v[0:1], v33, s[10:11] offset:40
	v_mov_b32_e32 v14, s14
	v_mov_b32_e32 v15, s15
	s_waitcnt vmcnt(0)
	v_readfirstlane_b32 s16, v0
	v_readfirstlane_b32 s17, v1
	s_and_b64 s[16:17], s[16:17], s[14:15]
	s_mul_i32 s17, s17, 24
	s_mul_hi_u32 s18, s16, 24
	s_mul_i32 s16, s16, 24
	s_add_i32 s17, s18, s17
	v_mov_b32_e32 v0, s17
	v_add_co_u32_e32 v12, vcc, s16, v24
	v_addc_co_u32_e32 v13, vcc, v25, v0, vcc
	global_store_dwordx2 v[12:13], v[16:17], off
	buffer_wbl2
	s_waitcnt vmcnt(0)
	global_atomic_cmpswap_x2 v[2:3], v33, v[14:17], s[10:11] offset:32 glc
	s_waitcnt vmcnt(0)
	v_cmp_ne_u64_e32 vcc, v[2:3], v[16:17]
	s_and_saveexec_b64 s[16:17], vcc
	s_cbranch_execz .LBB1_98
; %bb.96:                               ;   in Loop: Header=BB1_30 Depth=1
	s_mov_b64 s[18:19], 0
.LBB1_97:                               ;   Parent Loop BB1_30 Depth=1
                                        ; =>  This Inner Loop Header: Depth=2
	s_sleep 1
	global_store_dwordx2 v[12:13], v[2:3], off
	v_mov_b32_e32 v0, s14
	v_mov_b32_e32 v1, s15
	buffer_wbl2
	s_waitcnt vmcnt(0)
	global_atomic_cmpswap_x2 v[0:1], v33, v[0:3], s[10:11] offset:32 glc
	s_waitcnt vmcnt(0)
	v_cmp_eq_u64_e32 vcc, v[0:1], v[2:3]
	s_or_b64 s[18:19], vcc, s[18:19]
	v_pk_mov_b32 v[2:3], v[0:1], v[0:1] op_sel:[0,1]
	s_andn2_b64 exec, exec, s[18:19]
	s_cbranch_execnz .LBB1_97
.LBB1_98:                               ;   in Loop: Header=BB1_30 Depth=1
	s_or_b64 exec, exec, s[16:17]
	global_load_dwordx2 v[0:1], v33, s[10:11] offset:16
	s_mov_b64 s[18:19], exec
	v_mbcnt_lo_u32_b32 v2, s18, 0
	v_mbcnt_hi_u32_b32 v2, s19, v2
	v_cmp_eq_u32_e32 vcc, 0, v2
	s_and_saveexec_b64 s[16:17], vcc
	s_cbranch_execz .LBB1_100
; %bb.99:                               ;   in Loop: Header=BB1_30 Depth=1
	s_bcnt1_i32_b64 s18, s[18:19]
	v_mov_b32_e32 v32, s18
	buffer_wbl2
	s_waitcnt vmcnt(0)
	global_atomic_add_x2 v[0:1], v[32:33], off offset:8
.LBB1_100:                              ;   in Loop: Header=BB1_30 Depth=1
	s_or_b64 exec, exec, s[16:17]
	s_waitcnt vmcnt(0)
	global_load_dwordx2 v[2:3], v[0:1], off offset:16
	s_waitcnt vmcnt(0)
	v_cmp_eq_u64_e32 vcc, 0, v[2:3]
	s_cbranch_vccnz .LBB1_102
; %bb.101:                              ;   in Loop: Header=BB1_30 Depth=1
	global_load_dword v32, v[0:1], off offset:24
	s_waitcnt vmcnt(0)
	v_and_b32_e32 v0, 0xffffff, v32
	v_readfirstlane_b32 m0, v0
	buffer_wbl2
	global_store_dwordx2 v[2:3], v[32:33], off
	s_sendmsg sendmsg(MSG_INTERRUPT)
.LBB1_102:                              ;   in Loop: Header=BB1_30 Depth=1
	s_or_b64 exec, exec, s[6:7]
	v_add_co_u32_e32 v0, vcc, v8, v36
	v_addc_co_u32_e32 v1, vcc, 0, v9, vcc
	s_branch .LBB1_106
.LBB1_103:                              ;   in Loop: Header=BB1_106 Depth=2
	s_or_b64 exec, exec, s[6:7]
	v_readfirstlane_b32 s6, v2
	s_cmp_eq_u32 s6, 0
	s_cbranch_scc1 .LBB1_105
; %bb.104:                              ;   in Loop: Header=BB1_106 Depth=2
	s_sleep 1
	s_cbranch_execnz .LBB1_106
	s_branch .LBB1_108
.LBB1_105:                              ;   in Loop: Header=BB1_30 Depth=1
	s_branch .LBB1_108
.LBB1_106:                              ;   Parent Loop BB1_30 Depth=1
                                        ; =>  This Inner Loop Header: Depth=2
	v_mov_b32_e32 v2, 1
	s_and_saveexec_b64 s[6:7], s[4:5]
	s_cbranch_execz .LBB1_103
; %bb.107:                              ;   in Loop: Header=BB1_106 Depth=2
	global_load_dword v2, v[34:35], off offset:20 glc
	s_waitcnt vmcnt(0)
	buffer_invl2
	buffer_wbinvl1_vol
	v_and_b32_e32 v2, 1, v2
	s_branch .LBB1_103
.LBB1_108:                              ;   in Loop: Header=BB1_30 Depth=1
	global_load_dwordx4 v[0:3], v[0:1], off
	s_and_saveexec_b64 s[6:7], s[4:5]
	s_cbranch_execz .LBB1_29
; %bb.109:                              ;   in Loop: Header=BB1_30 Depth=1
	global_load_dwordx2 v[2:3], v33, s[10:11] offset:40
	global_load_dwordx2 v[8:9], v33, s[10:11] offset:24 glc
	global_load_dwordx2 v[16:17], v33, s[10:11]
	v_mov_b32_e32 v13, s15
	s_waitcnt vmcnt(2)
	v_add_co_u32_e32 v15, vcc, 1, v2
	v_addc_co_u32_e32 v18, vcc, 0, v3, vcc
	v_add_co_u32_e32 v12, vcc, s14, v15
	v_addc_co_u32_e32 v13, vcc, v18, v13, vcc
	v_cmp_eq_u64_e32 vcc, 0, v[12:13]
	v_cndmask_b32_e32 v13, v13, v18, vcc
	v_cndmask_b32_e32 v12, v12, v15, vcc
	v_and_b32_e32 v3, v13, v3
	v_and_b32_e32 v2, v12, v2
	v_mul_lo_u32 v3, v3, 24
	v_mul_hi_u32 v15, v2, 24
	v_mul_lo_u32 v2, v2, 24
	v_add_u32_e32 v3, v15, v3
	s_waitcnt vmcnt(0)
	v_add_co_u32_e32 v2, vcc, v16, v2
	v_addc_co_u32_e32 v3, vcc, v17, v3, vcc
	v_mov_b32_e32 v14, v8
	global_store_dwordx2 v[2:3], v[8:9], off
	v_mov_b32_e32 v15, v9
	buffer_wbl2
	s_waitcnt vmcnt(0)
	global_atomic_cmpswap_x2 v[14:15], v33, v[12:15], s[10:11] offset:24 glc
	s_waitcnt vmcnt(0)
	v_cmp_ne_u64_e32 vcc, v[14:15], v[8:9]
	s_and_b64 exec, exec, vcc
	s_cbranch_execz .LBB1_29
; %bb.110:                              ;   in Loop: Header=BB1_30 Depth=1
	s_mov_b64 s[4:5], 0
.LBB1_111:                              ;   Parent Loop BB1_30 Depth=1
                                        ; =>  This Inner Loop Header: Depth=2
	s_sleep 1
	global_store_dwordx2 v[2:3], v[14:15], off
	buffer_wbl2
	s_waitcnt vmcnt(0)
	global_atomic_cmpswap_x2 v[8:9], v33, v[12:15], s[10:11] offset:24 glc
	s_waitcnt vmcnt(0)
	v_cmp_eq_u64_e32 vcc, v[8:9], v[14:15]
	s_or_b64 s[4:5], vcc, s[4:5]
	v_pk_mov_b32 v[14:15], v[8:9], v[8:9] op_sel:[0,1]
	s_andn2_b64 exec, exec, s[4:5]
	s_cbranch_execnz .LBB1_111
	s_branch .LBB1_29
.LBB1_112:
                                        ; implicit-def: $vgpr0_vgpr1
	s_cbranch_execnz .LBB1_114
	s_branch .LBB1_140
.LBB1_113:
	s_or_b64 exec, exec, s[12:13]
	s_branch .LBB1_140
.LBB1_114:
	v_readfirstlane_b32 s4, v37
	v_cmp_eq_u32_e64 s[4:5], s4, v37
	v_pk_mov_b32 v[10:11], 0, 0
	s_and_saveexec_b64 s[6:7], s[4:5]
	s_cbranch_execz .LBB1_120
; %bb.115:
	s_waitcnt vmcnt(0)
	v_mov_b32_e32 v0, 0
	global_load_dwordx2 v[12:13], v0, s[10:11] offset:24 glc
	s_waitcnt vmcnt(0)
	buffer_invl2
	buffer_wbinvl1_vol
	global_load_dwordx2 v[2:3], v0, s[10:11] offset:40
	global_load_dwordx2 v[8:9], v0, s[10:11]
	s_waitcnt vmcnt(1)
	v_and_b32_e32 v1, v2, v12
	v_and_b32_e32 v2, v3, v13
	v_mul_lo_u32 v2, v2, 24
	v_mul_hi_u32 v3, v1, 24
	v_mul_lo_u32 v1, v1, 24
	v_add_u32_e32 v3, v3, v2
	s_waitcnt vmcnt(0)
	v_add_co_u32_e32 v2, vcc, v8, v1
	v_addc_co_u32_e32 v3, vcc, v9, v3, vcc
	global_load_dwordx2 v[10:11], v[2:3], off glc
	s_waitcnt vmcnt(0)
	global_atomic_cmpswap_x2 v[10:11], v0, v[10:13], s[10:11] offset:24 glc
	s_waitcnt vmcnt(0)
	buffer_invl2
	buffer_wbinvl1_vol
	v_cmp_ne_u64_e32 vcc, v[10:11], v[12:13]
	s_and_saveexec_b64 s[12:13], vcc
	s_cbranch_execz .LBB1_119
; %bb.116:
	s_mov_b64 s[14:15], 0
.LBB1_117:                              ; =>This Inner Loop Header: Depth=1
	s_sleep 1
	global_load_dwordx2 v[2:3], v0, s[10:11] offset:40
	global_load_dwordx2 v[8:9], v0, s[10:11]
	v_pk_mov_b32 v[12:13], v[10:11], v[10:11] op_sel:[0,1]
	s_waitcnt vmcnt(1)
	v_and_b32_e32 v2, v2, v12
	v_and_b32_e32 v1, v3, v13
	s_waitcnt vmcnt(0)
	v_mad_u64_u32 v[2:3], s[16:17], v2, 24, v[8:9]
	v_mov_b32_e32 v8, v3
	v_mad_u64_u32 v[8:9], s[16:17], v1, 24, v[8:9]
	v_mov_b32_e32 v3, v8
	global_load_dwordx2 v[10:11], v[2:3], off glc
	s_waitcnt vmcnt(0)
	global_atomic_cmpswap_x2 v[10:11], v0, v[10:13], s[10:11] offset:24 glc
	s_waitcnt vmcnt(0)
	buffer_invl2
	buffer_wbinvl1_vol
	v_cmp_eq_u64_e32 vcc, v[10:11], v[12:13]
	s_or_b64 s[14:15], vcc, s[14:15]
	s_andn2_b64 exec, exec, s[14:15]
	s_cbranch_execnz .LBB1_117
; %bb.118:
	s_or_b64 exec, exec, s[14:15]
.LBB1_119:
	s_or_b64 exec, exec, s[12:13]
.LBB1_120:
	s_or_b64 exec, exec, s[6:7]
	v_mov_b32_e32 v8, 0
	global_load_dwordx2 v[12:13], v8, s[10:11] offset:40
	global_load_dwordx4 v[0:3], v8, s[10:11]
	v_readfirstlane_b32 s6, v10
	v_readfirstlane_b32 s7, v11
	s_mov_b64 s[12:13], exec
	s_waitcnt vmcnt(1)
	v_readfirstlane_b32 s14, v12
	v_readfirstlane_b32 s15, v13
	s_and_b64 s[14:15], s[6:7], s[14:15]
	s_mul_i32 s16, s15, 24
	s_mul_hi_u32 s17, s14, 24
	s_mul_i32 s18, s14, 24
	s_add_i32 s16, s17, s16
	v_mov_b32_e32 v9, s16
	s_waitcnt vmcnt(0)
	v_add_co_u32_e32 v10, vcc, s18, v0
	v_addc_co_u32_e32 v11, vcc, v1, v9, vcc
	s_and_saveexec_b64 s[16:17], s[4:5]
	s_cbranch_execz .LBB1_122
; %bb.121:
	v_pk_mov_b32 v[12:13], s[12:13], s[12:13] op_sel:[0,1]
	v_mov_b32_e32 v14, 2
	v_mov_b32_e32 v15, 1
	global_store_dwordx4 v[10:11], v[12:15], off offset:8
.LBB1_122:
	s_or_b64 exec, exec, s[16:17]
	s_lshl_b64 s[12:13], s[14:15], 12
	v_mov_b32_e32 v9, s13
	v_add_co_u32_e32 v2, vcc, s12, v2
	s_movk_i32 s12, 0xff1f
	v_addc_co_u32_e32 v3, vcc, v3, v9, vcc
	v_and_or_b32 v6, v6, s12, 32
	s_mov_b32 s12, 0
	v_mov_b32_e32 v9, v8
	v_readfirstlane_b32 s16, v2
	v_readfirstlane_b32 s17, v3
	s_mov_b32 s13, s12
	v_add_co_u32_e32 v12, vcc, v2, v36
	s_mov_b32 s14, s12
	s_mov_b32 s15, s12
	s_nop 0
	global_store_dwordx4 v36, v[6:9], s[16:17]
	v_addc_co_u32_e32 v13, vcc, 0, v3, vcc
	v_pk_mov_b32 v[6:7], s[12:13], s[12:13] op_sel:[0,1]
	v_pk_mov_b32 v[8:9], s[14:15], s[14:15] op_sel:[0,1]
	global_store_dwordx4 v36, v[6:9], s[16:17] offset:16
	global_store_dwordx4 v36, v[6:9], s[16:17] offset:32
	;; [unrolled: 1-line block ×3, first 2 shown]
	s_and_saveexec_b64 s[12:13], s[4:5]
	s_cbranch_execz .LBB1_130
; %bb.123:
	v_mov_b32_e32 v8, 0
	global_load_dwordx2 v[16:17], v8, s[10:11] offset:32 glc
	global_load_dwordx2 v[2:3], v8, s[10:11] offset:40
	v_mov_b32_e32 v14, s6
	v_mov_b32_e32 v15, s7
	s_waitcnt vmcnt(0)
	v_readfirstlane_b32 s14, v2
	v_readfirstlane_b32 s15, v3
	s_and_b64 s[14:15], s[14:15], s[6:7]
	s_mul_i32 s15, s15, 24
	s_mul_hi_u32 s16, s14, 24
	s_mul_i32 s14, s14, 24
	s_add_i32 s15, s16, s15
	v_mov_b32_e32 v2, s15
	v_add_co_u32_e32 v6, vcc, s14, v0
	v_addc_co_u32_e32 v7, vcc, v1, v2, vcc
	global_store_dwordx2 v[6:7], v[16:17], off
	buffer_wbl2
	s_waitcnt vmcnt(0)
	global_atomic_cmpswap_x2 v[2:3], v8, v[14:17], s[10:11] offset:32 glc
	s_waitcnt vmcnt(0)
	v_cmp_ne_u64_e32 vcc, v[2:3], v[16:17]
	s_and_saveexec_b64 s[14:15], vcc
	s_cbranch_execz .LBB1_126
; %bb.124:
	s_mov_b64 s[16:17], 0
.LBB1_125:                              ; =>This Inner Loop Header: Depth=1
	s_sleep 1
	global_store_dwordx2 v[6:7], v[2:3], off
	v_mov_b32_e32 v0, s6
	v_mov_b32_e32 v1, s7
	buffer_wbl2
	s_waitcnt vmcnt(0)
	global_atomic_cmpswap_x2 v[0:1], v8, v[0:3], s[10:11] offset:32 glc
	s_waitcnt vmcnt(0)
	v_cmp_eq_u64_e32 vcc, v[0:1], v[2:3]
	s_or_b64 s[16:17], vcc, s[16:17]
	v_pk_mov_b32 v[2:3], v[0:1], v[0:1] op_sel:[0,1]
	s_andn2_b64 exec, exec, s[16:17]
	s_cbranch_execnz .LBB1_125
.LBB1_126:
	s_or_b64 exec, exec, s[14:15]
	v_mov_b32_e32 v3, 0
	global_load_dwordx2 v[0:1], v3, s[10:11] offset:16
	s_mov_b64 s[14:15], exec
	v_mbcnt_lo_u32_b32 v2, s14, 0
	v_mbcnt_hi_u32_b32 v2, s15, v2
	v_cmp_eq_u32_e32 vcc, 0, v2
	s_and_saveexec_b64 s[16:17], vcc
	s_cbranch_execz .LBB1_128
; %bb.127:
	s_bcnt1_i32_b64 s14, s[14:15]
	v_mov_b32_e32 v2, s14
	buffer_wbl2
	s_waitcnt vmcnt(0)
	global_atomic_add_x2 v[0:1], v[2:3], off offset:8
.LBB1_128:
	s_or_b64 exec, exec, s[16:17]
	s_waitcnt vmcnt(0)
	global_load_dwordx2 v[2:3], v[0:1], off offset:16
	s_waitcnt vmcnt(0)
	v_cmp_eq_u64_e32 vcc, 0, v[2:3]
	s_cbranch_vccnz .LBB1_130
; %bb.129:
	global_load_dword v0, v[0:1], off offset:24
	v_mov_b32_e32 v1, 0
	buffer_wbl2
	s_waitcnt vmcnt(0)
	global_store_dwordx2 v[2:3], v[0:1], off
	v_and_b32_e32 v0, 0xffffff, v0
	v_readfirstlane_b32 m0, v0
	s_sendmsg sendmsg(MSG_INTERRUPT)
.LBB1_130:
	s_or_b64 exec, exec, s[12:13]
	s_branch .LBB1_134
.LBB1_131:                              ;   in Loop: Header=BB1_134 Depth=1
	s_or_b64 exec, exec, s[12:13]
	v_readfirstlane_b32 s12, v0
	s_cmp_eq_u32 s12, 0
	s_cbranch_scc1 .LBB1_133
; %bb.132:                              ;   in Loop: Header=BB1_134 Depth=1
	s_sleep 1
	s_cbranch_execnz .LBB1_134
	s_branch .LBB1_136
.LBB1_133:
	s_branch .LBB1_136
.LBB1_134:                              ; =>This Inner Loop Header: Depth=1
	v_mov_b32_e32 v0, 1
	s_and_saveexec_b64 s[12:13], s[4:5]
	s_cbranch_execz .LBB1_131
; %bb.135:                              ;   in Loop: Header=BB1_134 Depth=1
	global_load_dword v0, v[10:11], off offset:20 glc
	s_waitcnt vmcnt(0)
	buffer_invl2
	buffer_wbinvl1_vol
	v_and_b32_e32 v0, 1, v0
	s_branch .LBB1_131
.LBB1_136:
	global_load_dwordx2 v[0:1], v[12:13], off
	s_and_saveexec_b64 s[12:13], s[4:5]
	s_cbranch_execz .LBB1_139
; %bb.137:
	v_mov_b32_e32 v10, 0
	global_load_dwordx2 v[2:3], v10, s[10:11] offset:40
	global_load_dwordx2 v[12:13], v10, s[10:11] offset:24 glc
	global_load_dwordx2 v[14:15], v10, s[10:11]
	v_mov_b32_e32 v7, s7
	s_mov_b64 s[4:5], 0
	s_waitcnt vmcnt(2)
	v_add_co_u32_e32 v9, vcc, 1, v2
	v_addc_co_u32_e32 v11, vcc, 0, v3, vcc
	v_add_co_u32_e32 v6, vcc, s6, v9
	v_addc_co_u32_e32 v7, vcc, v11, v7, vcc
	v_cmp_eq_u64_e32 vcc, 0, v[6:7]
	v_cndmask_b32_e32 v7, v7, v11, vcc
	v_cndmask_b32_e32 v6, v6, v9, vcc
	v_and_b32_e32 v3, v7, v3
	v_and_b32_e32 v2, v6, v2
	v_mul_lo_u32 v3, v3, 24
	v_mul_hi_u32 v9, v2, 24
	v_mul_lo_u32 v2, v2, 24
	v_add_u32_e32 v3, v9, v3
	s_waitcnt vmcnt(0)
	v_add_co_u32_e32 v2, vcc, v14, v2
	v_addc_co_u32_e32 v3, vcc, v15, v3, vcc
	v_mov_b32_e32 v8, v12
	global_store_dwordx2 v[2:3], v[12:13], off
	v_mov_b32_e32 v9, v13
	buffer_wbl2
	s_waitcnt vmcnt(0)
	global_atomic_cmpswap_x2 v[8:9], v10, v[6:9], s[10:11] offset:24 glc
	s_waitcnt vmcnt(0)
	v_cmp_ne_u64_e32 vcc, v[8:9], v[12:13]
	s_and_b64 exec, exec, vcc
	s_cbranch_execz .LBB1_139
.LBB1_138:                              ; =>This Inner Loop Header: Depth=1
	s_sleep 1
	global_store_dwordx2 v[2:3], v[8:9], off
	buffer_wbl2
	s_waitcnt vmcnt(0)
	global_atomic_cmpswap_x2 v[12:13], v10, v[6:9], s[10:11] offset:24 glc
	s_waitcnt vmcnt(0)
	v_cmp_eq_u64_e32 vcc, v[12:13], v[8:9]
	s_or_b64 s[4:5], vcc, s[4:5]
	v_pk_mov_b32 v[8:9], v[12:13], v[12:13] op_sel:[0,1]
	s_andn2_b64 exec, exec, s[4:5]
	s_cbranch_execnz .LBB1_138
.LBB1_139:
	s_or_b64 exec, exec, s[12:13]
.LBB1_140:
	s_getpc_b64 s[6:7]
	s_add_u32 s6, s6, .str.2@rel32@lo+4
	s_addc_u32 s7, s7, .str.2@rel32@hi+12
	s_cmp_lg_u64 s[6:7], 0
	s_cbranch_scc0 .LBB1_224
; %bb.141:
	s_getpc_b64 s[4:5]
	s_add_u32 s4, s4, .str.2@rel32@lo+80
	s_addc_u32 s5, s5, .str.2@rel32@hi+88
	s_sub_i32 s12, s4, s6
	s_ashr_i32 s13, s12, 31
	s_waitcnt vmcnt(0)
	v_and_b32_e32 v2, 2, v0
	v_mov_b32_e32 v33, 0
	v_and_b32_e32 v6, -3, v0
	v_mov_b32_e32 v7, v1
	v_mov_b32_e32 v10, 2
	;; [unrolled: 1-line block ×3, first 2 shown]
	s_branch .LBB1_143
.LBB1_142:                              ;   in Loop: Header=BB1_143 Depth=1
	s_or_b64 exec, exec, s[18:19]
	s_sub_u32 s12, s12, s14
	s_subb_u32 s13, s13, s15
	s_add_u32 s6, s6, s14
	s_addc_u32 s7, s7, s15
	s_cmp_lg_u64 s[12:13], 0
	s_cbranch_scc0 .LBB1_225
.LBB1_143:                              ; =>This Loop Header: Depth=1
                                        ;     Child Loop BB1_146 Depth 2
                                        ;     Child Loop BB1_153 Depth 2
	;; [unrolled: 1-line block ×11, first 2 shown]
	v_cmp_lt_u64_e64 s[4:5], s[12:13], 56
	s_and_b64 s[4:5], s[4:5], exec
	v_cmp_gt_u64_e64 s[4:5], s[12:13], 7
	s_cselect_b32 s15, s13, 0
	s_cselect_b32 s14, s12, 56
	s_and_b64 vcc, exec, s[4:5]
	s_cbranch_vccnz .LBB1_148
; %bb.144:                              ;   in Loop: Header=BB1_143 Depth=1
	s_mov_b64 s[4:5], 0
	s_cmp_eq_u64 s[12:13], 0
	v_pk_mov_b32 v[14:15], 0, 0
	s_cbranch_scc1 .LBB1_147
; %bb.145:                              ;   in Loop: Header=BB1_143 Depth=1
	s_lshl_b64 s[16:17], s[14:15], 3
	s_mov_b64 s[18:19], 0
	v_pk_mov_b32 v[14:15], 0, 0
	s_mov_b64 s[20:21], s[6:7]
.LBB1_146:                              ;   Parent Loop BB1_143 Depth=1
                                        ; =>  This Inner Loop Header: Depth=2
	global_load_ubyte v3, v33, s[20:21]
	s_waitcnt vmcnt(0)
	v_and_b32_e32 v32, 0xffff, v3
	v_lshlrev_b64 v[8:9], s18, v[32:33]
	s_add_u32 s18, s18, 8
	s_addc_u32 s19, s19, 0
	s_add_u32 s20, s20, 1
	s_addc_u32 s21, s21, 0
	v_or_b32_e32 v14, v8, v14
	s_cmp_lg_u32 s16, s18
	v_or_b32_e32 v15, v9, v15
	s_cbranch_scc1 .LBB1_146
.LBB1_147:                              ;   in Loop: Header=BB1_143 Depth=1
	s_mov_b32 s20, 0
	s_andn2_b64 vcc, exec, s[4:5]
	s_mov_b64 s[4:5], s[6:7]
	s_cbranch_vccz .LBB1_149
	s_branch .LBB1_150
.LBB1_148:                              ;   in Loop: Header=BB1_143 Depth=1
                                        ; implicit-def: $vgpr14_vgpr15
                                        ; implicit-def: $sgpr20
	s_mov_b64 s[4:5], s[6:7]
.LBB1_149:                              ;   in Loop: Header=BB1_143 Depth=1
	global_load_dwordx2 v[14:15], v33, s[6:7]
	s_add_i32 s20, s14, -8
	s_add_u32 s4, s6, 8
	s_addc_u32 s5, s7, 0
.LBB1_150:                              ;   in Loop: Header=BB1_143 Depth=1
	s_cmp_gt_u32 s20, 7
	s_cbranch_scc1 .LBB1_154
; %bb.151:                              ;   in Loop: Header=BB1_143 Depth=1
	s_cmp_eq_u32 s20, 0
	s_cbranch_scc1 .LBB1_155
; %bb.152:                              ;   in Loop: Header=BB1_143 Depth=1
	s_mov_b64 s[16:17], 0
	v_pk_mov_b32 v[16:17], 0, 0
	s_mov_b64 s[18:19], 0
.LBB1_153:                              ;   Parent Loop BB1_143 Depth=1
                                        ; =>  This Inner Loop Header: Depth=2
	s_add_u32 s22, s4, s18
	s_addc_u32 s23, s5, s19
	global_load_ubyte v3, v33, s[22:23]
	s_add_u32 s18, s18, 1
	s_addc_u32 s19, s19, 0
	s_waitcnt vmcnt(0)
	v_and_b32_e32 v32, 0xffff, v3
	v_lshlrev_b64 v[8:9], s16, v[32:33]
	s_add_u32 s16, s16, 8
	s_addc_u32 s17, s17, 0
	v_or_b32_e32 v16, v8, v16
	s_cmp_lg_u32 s20, s18
	v_or_b32_e32 v17, v9, v17
	s_cbranch_scc1 .LBB1_153
	s_branch .LBB1_156
.LBB1_154:                              ;   in Loop: Header=BB1_143 Depth=1
                                        ; implicit-def: $vgpr16_vgpr17
                                        ; implicit-def: $sgpr21
	s_branch .LBB1_157
.LBB1_155:                              ;   in Loop: Header=BB1_143 Depth=1
	v_pk_mov_b32 v[16:17], 0, 0
.LBB1_156:                              ;   in Loop: Header=BB1_143 Depth=1
	s_mov_b32 s21, 0
	s_cbranch_execnz .LBB1_158
.LBB1_157:                              ;   in Loop: Header=BB1_143 Depth=1
	global_load_dwordx2 v[16:17], v33, s[4:5]
	s_add_i32 s21, s20, -8
	s_add_u32 s4, s4, 8
	s_addc_u32 s5, s5, 0
.LBB1_158:                              ;   in Loop: Header=BB1_143 Depth=1
	s_cmp_gt_u32 s21, 7
	s_cbranch_scc1 .LBB1_162
; %bb.159:                              ;   in Loop: Header=BB1_143 Depth=1
	s_cmp_eq_u32 s21, 0
	s_cbranch_scc1 .LBB1_163
; %bb.160:                              ;   in Loop: Header=BB1_143 Depth=1
	s_mov_b64 s[16:17], 0
	v_pk_mov_b32 v[18:19], 0, 0
	s_mov_b64 s[18:19], 0
.LBB1_161:                              ;   Parent Loop BB1_143 Depth=1
                                        ; =>  This Inner Loop Header: Depth=2
	s_add_u32 s22, s4, s18
	s_addc_u32 s23, s5, s19
	global_load_ubyte v3, v33, s[22:23]
	s_add_u32 s18, s18, 1
	s_addc_u32 s19, s19, 0
	s_waitcnt vmcnt(0)
	v_and_b32_e32 v32, 0xffff, v3
	v_lshlrev_b64 v[8:9], s16, v[32:33]
	s_add_u32 s16, s16, 8
	s_addc_u32 s17, s17, 0
	v_or_b32_e32 v18, v8, v18
	s_cmp_lg_u32 s21, s18
	v_or_b32_e32 v19, v9, v19
	s_cbranch_scc1 .LBB1_161
	s_branch .LBB1_164
.LBB1_162:                              ;   in Loop: Header=BB1_143 Depth=1
                                        ; implicit-def: $sgpr20
	s_branch .LBB1_165
.LBB1_163:                              ;   in Loop: Header=BB1_143 Depth=1
	v_pk_mov_b32 v[18:19], 0, 0
.LBB1_164:                              ;   in Loop: Header=BB1_143 Depth=1
	s_mov_b32 s20, 0
	s_cbranch_execnz .LBB1_166
.LBB1_165:                              ;   in Loop: Header=BB1_143 Depth=1
	global_load_dwordx2 v[18:19], v33, s[4:5]
	s_add_i32 s20, s21, -8
	s_add_u32 s4, s4, 8
	s_addc_u32 s5, s5, 0
.LBB1_166:                              ;   in Loop: Header=BB1_143 Depth=1
	s_cmp_gt_u32 s20, 7
	s_cbranch_scc1 .LBB1_170
; %bb.167:                              ;   in Loop: Header=BB1_143 Depth=1
	s_cmp_eq_u32 s20, 0
	s_cbranch_scc1 .LBB1_171
; %bb.168:                              ;   in Loop: Header=BB1_143 Depth=1
	s_mov_b64 s[16:17], 0
	v_pk_mov_b32 v[20:21], 0, 0
	s_mov_b64 s[18:19], 0
.LBB1_169:                              ;   Parent Loop BB1_143 Depth=1
                                        ; =>  This Inner Loop Header: Depth=2
	s_add_u32 s22, s4, s18
	s_addc_u32 s23, s5, s19
	global_load_ubyte v3, v33, s[22:23]
	s_add_u32 s18, s18, 1
	s_addc_u32 s19, s19, 0
	s_waitcnt vmcnt(0)
	v_and_b32_e32 v32, 0xffff, v3
	v_lshlrev_b64 v[8:9], s16, v[32:33]
	s_add_u32 s16, s16, 8
	s_addc_u32 s17, s17, 0
	v_or_b32_e32 v20, v8, v20
	s_cmp_lg_u32 s20, s18
	v_or_b32_e32 v21, v9, v21
	s_cbranch_scc1 .LBB1_169
	s_branch .LBB1_172
.LBB1_170:                              ;   in Loop: Header=BB1_143 Depth=1
                                        ; implicit-def: $vgpr20_vgpr21
                                        ; implicit-def: $sgpr21
	s_branch .LBB1_173
.LBB1_171:                              ;   in Loop: Header=BB1_143 Depth=1
	v_pk_mov_b32 v[20:21], 0, 0
.LBB1_172:                              ;   in Loop: Header=BB1_143 Depth=1
	s_mov_b32 s21, 0
	s_cbranch_execnz .LBB1_174
.LBB1_173:                              ;   in Loop: Header=BB1_143 Depth=1
	global_load_dwordx2 v[20:21], v33, s[4:5]
	s_add_i32 s21, s20, -8
	s_add_u32 s4, s4, 8
	s_addc_u32 s5, s5, 0
.LBB1_174:                              ;   in Loop: Header=BB1_143 Depth=1
	s_cmp_gt_u32 s21, 7
	s_cbranch_scc1 .LBB1_178
; %bb.175:                              ;   in Loop: Header=BB1_143 Depth=1
	s_cmp_eq_u32 s21, 0
	s_cbranch_scc1 .LBB1_179
; %bb.176:                              ;   in Loop: Header=BB1_143 Depth=1
	s_mov_b64 s[16:17], 0
	v_pk_mov_b32 v[22:23], 0, 0
	s_mov_b64 s[18:19], 0
.LBB1_177:                              ;   Parent Loop BB1_143 Depth=1
                                        ; =>  This Inner Loop Header: Depth=2
	s_add_u32 s22, s4, s18
	s_addc_u32 s23, s5, s19
	global_load_ubyte v3, v33, s[22:23]
	s_add_u32 s18, s18, 1
	s_addc_u32 s19, s19, 0
	s_waitcnt vmcnt(0)
	v_and_b32_e32 v32, 0xffff, v3
	v_lshlrev_b64 v[8:9], s16, v[32:33]
	s_add_u32 s16, s16, 8
	s_addc_u32 s17, s17, 0
	v_or_b32_e32 v22, v8, v22
	s_cmp_lg_u32 s21, s18
	v_or_b32_e32 v23, v9, v23
	s_cbranch_scc1 .LBB1_177
	s_branch .LBB1_180
.LBB1_178:                              ;   in Loop: Header=BB1_143 Depth=1
                                        ; implicit-def: $sgpr20
	s_branch .LBB1_181
.LBB1_179:                              ;   in Loop: Header=BB1_143 Depth=1
	v_pk_mov_b32 v[22:23], 0, 0
.LBB1_180:                              ;   in Loop: Header=BB1_143 Depth=1
	s_mov_b32 s20, 0
	s_cbranch_execnz .LBB1_182
.LBB1_181:                              ;   in Loop: Header=BB1_143 Depth=1
	global_load_dwordx2 v[22:23], v33, s[4:5]
	s_add_i32 s20, s21, -8
	s_add_u32 s4, s4, 8
	s_addc_u32 s5, s5, 0
.LBB1_182:                              ;   in Loop: Header=BB1_143 Depth=1
	s_cmp_gt_u32 s20, 7
	s_cbranch_scc1 .LBB1_186
; %bb.183:                              ;   in Loop: Header=BB1_143 Depth=1
	s_cmp_eq_u32 s20, 0
	s_cbranch_scc1 .LBB1_187
; %bb.184:                              ;   in Loop: Header=BB1_143 Depth=1
	s_mov_b64 s[16:17], 0
	v_pk_mov_b32 v[24:25], 0, 0
	s_mov_b64 s[18:19], 0
.LBB1_185:                              ;   Parent Loop BB1_143 Depth=1
                                        ; =>  This Inner Loop Header: Depth=2
	s_add_u32 s22, s4, s18
	s_addc_u32 s23, s5, s19
	global_load_ubyte v3, v33, s[22:23]
	s_add_u32 s18, s18, 1
	s_addc_u32 s19, s19, 0
	s_waitcnt vmcnt(0)
	v_and_b32_e32 v32, 0xffff, v3
	v_lshlrev_b64 v[8:9], s16, v[32:33]
	s_add_u32 s16, s16, 8
	s_addc_u32 s17, s17, 0
	v_or_b32_e32 v24, v8, v24
	s_cmp_lg_u32 s20, s18
	v_or_b32_e32 v25, v9, v25
	s_cbranch_scc1 .LBB1_185
	s_branch .LBB1_188
.LBB1_186:                              ;   in Loop: Header=BB1_143 Depth=1
                                        ; implicit-def: $vgpr24_vgpr25
                                        ; implicit-def: $sgpr21
	s_branch .LBB1_189
.LBB1_187:                              ;   in Loop: Header=BB1_143 Depth=1
	v_pk_mov_b32 v[24:25], 0, 0
.LBB1_188:                              ;   in Loop: Header=BB1_143 Depth=1
	s_mov_b32 s21, 0
	s_cbranch_execnz .LBB1_190
.LBB1_189:                              ;   in Loop: Header=BB1_143 Depth=1
	global_load_dwordx2 v[24:25], v33, s[4:5]
	s_add_i32 s21, s20, -8
	s_add_u32 s4, s4, 8
	s_addc_u32 s5, s5, 0
.LBB1_190:                              ;   in Loop: Header=BB1_143 Depth=1
	s_cmp_gt_u32 s21, 7
	s_cbranch_scc1 .LBB1_194
; %bb.191:                              ;   in Loop: Header=BB1_143 Depth=1
	s_cmp_eq_u32 s21, 0
	s_cbranch_scc1 .LBB1_195
; %bb.192:                              ;   in Loop: Header=BB1_143 Depth=1
	s_mov_b64 s[16:17], 0
	v_pk_mov_b32 v[26:27], 0, 0
	s_mov_b64 s[18:19], s[4:5]
.LBB1_193:                              ;   Parent Loop BB1_143 Depth=1
                                        ; =>  This Inner Loop Header: Depth=2
	global_load_ubyte v3, v33, s[18:19]
	s_add_i32 s21, s21, -1
	s_waitcnt vmcnt(0)
	v_and_b32_e32 v32, 0xffff, v3
	v_lshlrev_b64 v[8:9], s16, v[32:33]
	s_add_u32 s16, s16, 8
	s_addc_u32 s17, s17, 0
	s_add_u32 s18, s18, 1
	s_addc_u32 s19, s19, 0
	v_or_b32_e32 v26, v8, v26
	s_cmp_lg_u32 s21, 0
	v_or_b32_e32 v27, v9, v27
	s_cbranch_scc1 .LBB1_193
	s_branch .LBB1_196
.LBB1_194:                              ;   in Loop: Header=BB1_143 Depth=1
	s_branch .LBB1_197
.LBB1_195:                              ;   in Loop: Header=BB1_143 Depth=1
	v_pk_mov_b32 v[26:27], 0, 0
.LBB1_196:                              ;   in Loop: Header=BB1_143 Depth=1
	s_cbranch_execnz .LBB1_198
.LBB1_197:                              ;   in Loop: Header=BB1_143 Depth=1
	global_load_dwordx2 v[26:27], v33, s[4:5]
.LBB1_198:                              ;   in Loop: Header=BB1_143 Depth=1
	v_readfirstlane_b32 s4, v37
	v_cmp_eq_u32_e64 s[4:5], s4, v37
	s_waitcnt vmcnt(0)
	v_pk_mov_b32 v[8:9], 0, 0
	s_and_saveexec_b64 s[16:17], s[4:5]
	s_cbranch_execz .LBB1_204
; %bb.199:                              ;   in Loop: Header=BB1_143 Depth=1
	global_load_dwordx2 v[30:31], v33, s[10:11] offset:24 glc
	s_waitcnt vmcnt(0)
	buffer_invl2
	buffer_wbinvl1_vol
	global_load_dwordx2 v[8:9], v33, s[10:11] offset:40
	global_load_dwordx2 v[12:13], v33, s[10:11]
	s_waitcnt vmcnt(1)
	v_and_b32_e32 v3, v8, v30
	v_and_b32_e32 v8, v9, v31
	v_mul_lo_u32 v8, v8, 24
	v_mul_hi_u32 v9, v3, 24
	v_mul_lo_u32 v3, v3, 24
	v_add_u32_e32 v9, v9, v8
	s_waitcnt vmcnt(0)
	v_add_co_u32_e32 v8, vcc, v12, v3
	v_addc_co_u32_e32 v9, vcc, v13, v9, vcc
	global_load_dwordx2 v[28:29], v[8:9], off glc
	s_waitcnt vmcnt(0)
	global_atomic_cmpswap_x2 v[8:9], v33, v[28:31], s[10:11] offset:24 glc
	s_waitcnt vmcnt(0)
	buffer_invl2
	buffer_wbinvl1_vol
	v_cmp_ne_u64_e32 vcc, v[8:9], v[30:31]
	s_and_saveexec_b64 s[18:19], vcc
	s_cbranch_execz .LBB1_203
; %bb.200:                              ;   in Loop: Header=BB1_143 Depth=1
	s_mov_b64 s[20:21], 0
.LBB1_201:                              ;   Parent Loop BB1_143 Depth=1
                                        ; =>  This Inner Loop Header: Depth=2
	s_sleep 1
	global_load_dwordx2 v[12:13], v33, s[10:11] offset:40
	global_load_dwordx2 v[28:29], v33, s[10:11]
	v_pk_mov_b32 v[30:31], v[8:9], v[8:9] op_sel:[0,1]
	s_waitcnt vmcnt(1)
	v_and_b32_e32 v8, v12, v30
	s_waitcnt vmcnt(0)
	v_mad_u64_u32 v[8:9], s[22:23], v8, 24, v[28:29]
	v_and_b32_e32 v3, v13, v31
	v_mov_b32_e32 v12, v9
	v_mad_u64_u32 v[12:13], s[22:23], v3, 24, v[12:13]
	v_mov_b32_e32 v9, v12
	global_load_dwordx2 v[28:29], v[8:9], off glc
	s_waitcnt vmcnt(0)
	global_atomic_cmpswap_x2 v[8:9], v33, v[28:31], s[10:11] offset:24 glc
	s_waitcnt vmcnt(0)
	buffer_invl2
	buffer_wbinvl1_vol
	v_cmp_eq_u64_e32 vcc, v[8:9], v[30:31]
	s_or_b64 s[20:21], vcc, s[20:21]
	s_andn2_b64 exec, exec, s[20:21]
	s_cbranch_execnz .LBB1_201
; %bb.202:                              ;   in Loop: Header=BB1_143 Depth=1
	s_or_b64 exec, exec, s[20:21]
.LBB1_203:                              ;   in Loop: Header=BB1_143 Depth=1
	s_or_b64 exec, exec, s[18:19]
.LBB1_204:                              ;   in Loop: Header=BB1_143 Depth=1
	s_or_b64 exec, exec, s[16:17]
	global_load_dwordx2 v[12:13], v33, s[10:11] offset:40
	global_load_dwordx4 v[28:31], v33, s[10:11]
	v_readfirstlane_b32 s16, v8
	v_readfirstlane_b32 s17, v9
	s_mov_b64 s[18:19], exec
	s_waitcnt vmcnt(1)
	v_readfirstlane_b32 s20, v12
	v_readfirstlane_b32 s21, v13
	s_and_b64 s[20:21], s[16:17], s[20:21]
	s_mul_i32 s22, s21, 24
	s_mul_hi_u32 s23, s20, 24
	s_mul_i32 s24, s20, 24
	s_add_i32 s22, s23, s22
	v_mov_b32_e32 v3, s22
	s_waitcnt vmcnt(0)
	v_add_co_u32_e32 v34, vcc, s24, v28
	v_addc_co_u32_e32 v35, vcc, v29, v3, vcc
	s_and_saveexec_b64 s[22:23], s[4:5]
	s_cbranch_execz .LBB1_206
; %bb.205:                              ;   in Loop: Header=BB1_143 Depth=1
	v_pk_mov_b32 v[8:9], s[18:19], s[18:19] op_sel:[0,1]
	global_store_dwordx4 v[34:35], v[8:11], off offset:8
.LBB1_206:                              ;   in Loop: Header=BB1_143 Depth=1
	s_or_b64 exec, exec, s[22:23]
	s_lshl_b64 s[18:19], s[20:21], 12
	v_mov_b32_e32 v3, s19
	v_add_co_u32_e32 v30, vcc, s18, v30
	v_addc_co_u32_e32 v3, vcc, v31, v3, vcc
	v_or_b32_e32 v9, v6, v2
	v_cmp_gt_u64_e64 vcc, s[12:13], 56
	s_lshl_b32 s18, s14, 2
	v_cndmask_b32_e32 v6, v9, v6, vcc
	s_add_i32 s18, s18, 28
	v_or_b32_e32 v8, 0, v7
	s_and_b32 s18, s18, 0x1e0
	v_and_b32_e32 v6, 0xffffff1f, v6
	v_cndmask_b32_e32 v13, v8, v7, vcc
	v_or_b32_e32 v12, s18, v6
	v_readfirstlane_b32 s18, v30
	v_readfirstlane_b32 s19, v3
	s_nop 4
	global_store_dwordx4 v36, v[12:15], s[18:19]
	global_store_dwordx4 v36, v[16:19], s[18:19] offset:16
	global_store_dwordx4 v36, v[20:23], s[18:19] offset:32
	global_store_dwordx4 v36, v[24:27], s[18:19] offset:48
	s_and_saveexec_b64 s[18:19], s[4:5]
	s_cbranch_execz .LBB1_214
; %bb.207:                              ;   in Loop: Header=BB1_143 Depth=1
	global_load_dwordx2 v[16:17], v33, s[10:11] offset:32 glc
	global_load_dwordx2 v[6:7], v33, s[10:11] offset:40
	v_mov_b32_e32 v14, s16
	v_mov_b32_e32 v15, s17
	s_waitcnt vmcnt(0)
	v_readfirstlane_b32 s20, v6
	v_readfirstlane_b32 s21, v7
	s_and_b64 s[20:21], s[20:21], s[16:17]
	s_mul_i32 s21, s21, 24
	s_mul_hi_u32 s22, s20, 24
	s_mul_i32 s20, s20, 24
	s_add_i32 s21, s22, s21
	v_mov_b32_e32 v6, s21
	v_add_co_u32_e32 v12, vcc, s20, v28
	v_addc_co_u32_e32 v13, vcc, v29, v6, vcc
	global_store_dwordx2 v[12:13], v[16:17], off
	buffer_wbl2
	s_waitcnt vmcnt(0)
	global_atomic_cmpswap_x2 v[8:9], v33, v[14:17], s[10:11] offset:32 glc
	s_waitcnt vmcnt(0)
	v_cmp_ne_u64_e32 vcc, v[8:9], v[16:17]
	s_and_saveexec_b64 s[20:21], vcc
	s_cbranch_execz .LBB1_210
; %bb.208:                              ;   in Loop: Header=BB1_143 Depth=1
	s_mov_b64 s[22:23], 0
.LBB1_209:                              ;   Parent Loop BB1_143 Depth=1
                                        ; =>  This Inner Loop Header: Depth=2
	s_sleep 1
	global_store_dwordx2 v[12:13], v[8:9], off
	v_mov_b32_e32 v6, s16
	v_mov_b32_e32 v7, s17
	buffer_wbl2
	s_waitcnt vmcnt(0)
	global_atomic_cmpswap_x2 v[6:7], v33, v[6:9], s[10:11] offset:32 glc
	s_waitcnt vmcnt(0)
	v_cmp_eq_u64_e32 vcc, v[6:7], v[8:9]
	s_or_b64 s[22:23], vcc, s[22:23]
	v_pk_mov_b32 v[8:9], v[6:7], v[6:7] op_sel:[0,1]
	s_andn2_b64 exec, exec, s[22:23]
	s_cbranch_execnz .LBB1_209
.LBB1_210:                              ;   in Loop: Header=BB1_143 Depth=1
	s_or_b64 exec, exec, s[20:21]
	global_load_dwordx2 v[6:7], v33, s[10:11] offset:16
	s_mov_b64 s[22:23], exec
	v_mbcnt_lo_u32_b32 v8, s22, 0
	v_mbcnt_hi_u32_b32 v8, s23, v8
	v_cmp_eq_u32_e32 vcc, 0, v8
	s_and_saveexec_b64 s[20:21], vcc
	s_cbranch_execz .LBB1_212
; %bb.211:                              ;   in Loop: Header=BB1_143 Depth=1
	s_bcnt1_i32_b64 s22, s[22:23]
	v_mov_b32_e32 v32, s22
	buffer_wbl2
	s_waitcnt vmcnt(0)
	global_atomic_add_x2 v[6:7], v[32:33], off offset:8
.LBB1_212:                              ;   in Loop: Header=BB1_143 Depth=1
	s_or_b64 exec, exec, s[20:21]
	s_waitcnt vmcnt(0)
	global_load_dwordx2 v[8:9], v[6:7], off offset:16
	s_waitcnt vmcnt(0)
	v_cmp_eq_u64_e32 vcc, 0, v[8:9]
	s_cbranch_vccnz .LBB1_214
; %bb.213:                              ;   in Loop: Header=BB1_143 Depth=1
	global_load_dword v32, v[6:7], off offset:24
	s_waitcnt vmcnt(0)
	v_and_b32_e32 v6, 0xffffff, v32
	v_readfirstlane_b32 m0, v6
	buffer_wbl2
	global_store_dwordx2 v[8:9], v[32:33], off
	s_sendmsg sendmsg(MSG_INTERRUPT)
.LBB1_214:                              ;   in Loop: Header=BB1_143 Depth=1
	s_or_b64 exec, exec, s[18:19]
	v_add_co_u32_e32 v6, vcc, v30, v36
	v_addc_co_u32_e32 v7, vcc, 0, v3, vcc
	s_branch .LBB1_218
.LBB1_215:                              ;   in Loop: Header=BB1_218 Depth=2
	s_or_b64 exec, exec, s[18:19]
	v_readfirstlane_b32 s18, v3
	s_cmp_eq_u32 s18, 0
	s_cbranch_scc1 .LBB1_217
; %bb.216:                              ;   in Loop: Header=BB1_218 Depth=2
	s_sleep 1
	s_cbranch_execnz .LBB1_218
	s_branch .LBB1_220
.LBB1_217:                              ;   in Loop: Header=BB1_143 Depth=1
	s_branch .LBB1_220
.LBB1_218:                              ;   Parent Loop BB1_143 Depth=1
                                        ; =>  This Inner Loop Header: Depth=2
	v_mov_b32_e32 v3, 1
	s_and_saveexec_b64 s[18:19], s[4:5]
	s_cbranch_execz .LBB1_215
; %bb.219:                              ;   in Loop: Header=BB1_218 Depth=2
	global_load_dword v3, v[34:35], off offset:20 glc
	s_waitcnt vmcnt(0)
	buffer_invl2
	buffer_wbinvl1_vol
	v_and_b32_e32 v3, 1, v3
	s_branch .LBB1_215
.LBB1_220:                              ;   in Loop: Header=BB1_143 Depth=1
	global_load_dwordx4 v[6:9], v[6:7], off
	s_and_saveexec_b64 s[18:19], s[4:5]
	s_cbranch_execz .LBB1_142
; %bb.221:                              ;   in Loop: Header=BB1_143 Depth=1
	global_load_dwordx2 v[8:9], v33, s[10:11] offset:40
	global_load_dwordx2 v[16:17], v33, s[10:11] offset:24 glc
	global_load_dwordx2 v[18:19], v33, s[10:11]
	v_mov_b32_e32 v3, s17
	s_waitcnt vmcnt(2)
	v_add_co_u32_e32 v15, vcc, 1, v8
	v_addc_co_u32_e32 v20, vcc, 0, v9, vcc
	v_add_co_u32_e32 v12, vcc, s16, v15
	v_addc_co_u32_e32 v13, vcc, v20, v3, vcc
	v_cmp_eq_u64_e32 vcc, 0, v[12:13]
	v_cndmask_b32_e32 v13, v13, v20, vcc
	v_cndmask_b32_e32 v12, v12, v15, vcc
	v_and_b32_e32 v3, v13, v9
	v_and_b32_e32 v8, v12, v8
	v_mul_lo_u32 v3, v3, 24
	v_mul_hi_u32 v9, v8, 24
	v_mul_lo_u32 v8, v8, 24
	v_add_u32_e32 v3, v9, v3
	s_waitcnt vmcnt(0)
	v_add_co_u32_e32 v8, vcc, v18, v8
	v_addc_co_u32_e32 v9, vcc, v19, v3, vcc
	v_mov_b32_e32 v14, v16
	global_store_dwordx2 v[8:9], v[16:17], off
	v_mov_b32_e32 v15, v17
	buffer_wbl2
	s_waitcnt vmcnt(0)
	global_atomic_cmpswap_x2 v[14:15], v33, v[12:15], s[10:11] offset:24 glc
	s_waitcnt vmcnt(0)
	v_cmp_ne_u64_e32 vcc, v[14:15], v[16:17]
	s_and_b64 exec, exec, vcc
	s_cbranch_execz .LBB1_142
; %bb.222:                              ;   in Loop: Header=BB1_143 Depth=1
	s_mov_b64 s[4:5], 0
.LBB1_223:                              ;   Parent Loop BB1_143 Depth=1
                                        ; =>  This Inner Loop Header: Depth=2
	s_sleep 1
	global_store_dwordx2 v[8:9], v[14:15], off
	buffer_wbl2
	s_waitcnt vmcnt(0)
	global_atomic_cmpswap_x2 v[16:17], v33, v[12:15], s[10:11] offset:24 glc
	s_waitcnt vmcnt(0)
	v_cmp_eq_u64_e32 vcc, v[16:17], v[14:15]
	s_or_b64 s[4:5], vcc, s[4:5]
	v_pk_mov_b32 v[14:15], v[16:17], v[16:17] op_sel:[0,1]
	s_andn2_b64 exec, exec, s[4:5]
	s_cbranch_execnz .LBB1_223
	s_branch .LBB1_142
.LBB1_224:
                                        ; implicit-def: $vgpr6_vgpr7
	s_cbranch_execnz .LBB1_226
	s_branch .LBB1_252
.LBB1_225:
	s_branch .LBB1_252
.LBB1_226:
	v_readfirstlane_b32 s4, v37
	v_cmp_eq_u32_e64 s[4:5], s4, v37
	v_pk_mov_b32 v[10:11], 0, 0
	s_and_saveexec_b64 s[6:7], s[4:5]
	s_cbranch_execz .LBB1_232
; %bb.227:
	s_waitcnt vmcnt(0)
	v_mov_b32_e32 v2, 0
	global_load_dwordx2 v[8:9], v2, s[10:11] offset:24 glc
	s_waitcnt vmcnt(0)
	buffer_invl2
	buffer_wbinvl1_vol
	global_load_dwordx2 v[6:7], v2, s[10:11] offset:40
	global_load_dwordx2 v[10:11], v2, s[10:11]
	s_waitcnt vmcnt(1)
	v_and_b32_e32 v3, v6, v8
	v_and_b32_e32 v6, v7, v9
	v_mul_lo_u32 v6, v6, 24
	v_mul_hi_u32 v7, v3, 24
	v_mul_lo_u32 v3, v3, 24
	v_add_u32_e32 v7, v7, v6
	s_waitcnt vmcnt(0)
	v_add_co_u32_e32 v6, vcc, v10, v3
	v_addc_co_u32_e32 v7, vcc, v11, v7, vcc
	global_load_dwordx2 v[6:7], v[6:7], off glc
	s_waitcnt vmcnt(0)
	global_atomic_cmpswap_x2 v[10:11], v2, v[6:9], s[10:11] offset:24 glc
	s_waitcnt vmcnt(0)
	buffer_invl2
	buffer_wbinvl1_vol
	v_cmp_ne_u64_e32 vcc, v[10:11], v[8:9]
	s_and_saveexec_b64 s[12:13], vcc
	s_cbranch_execz .LBB1_231
; %bb.228:
	s_mov_b64 s[14:15], 0
.LBB1_229:                              ; =>This Inner Loop Header: Depth=1
	s_sleep 1
	global_load_dwordx2 v[6:7], v2, s[10:11] offset:40
	global_load_dwordx2 v[12:13], v2, s[10:11]
	v_pk_mov_b32 v[8:9], v[10:11], v[10:11] op_sel:[0,1]
	s_waitcnt vmcnt(1)
	v_and_b32_e32 v6, v6, v8
	v_and_b32_e32 v3, v7, v9
	s_waitcnt vmcnt(0)
	v_mad_u64_u32 v[6:7], s[16:17], v6, 24, v[12:13]
	v_mov_b32_e32 v10, v7
	v_mad_u64_u32 v[10:11], s[16:17], v3, 24, v[10:11]
	v_mov_b32_e32 v7, v10
	global_load_dwordx2 v[6:7], v[6:7], off glc
	s_waitcnt vmcnt(0)
	global_atomic_cmpswap_x2 v[10:11], v2, v[6:9], s[10:11] offset:24 glc
	s_waitcnt vmcnt(0)
	buffer_invl2
	buffer_wbinvl1_vol
	v_cmp_eq_u64_e32 vcc, v[10:11], v[8:9]
	s_or_b64 s[14:15], vcc, s[14:15]
	s_andn2_b64 exec, exec, s[14:15]
	s_cbranch_execnz .LBB1_229
; %bb.230:
	s_or_b64 exec, exec, s[14:15]
.LBB1_231:
	s_or_b64 exec, exec, s[12:13]
.LBB1_232:
	s_or_b64 exec, exec, s[6:7]
	s_waitcnt vmcnt(0)
	v_mov_b32_e32 v2, 0
	global_load_dwordx2 v[12:13], v2, s[10:11] offset:40
	global_load_dwordx4 v[6:9], v2, s[10:11]
	v_readfirstlane_b32 s6, v10
	v_readfirstlane_b32 s7, v11
	s_mov_b64 s[12:13], exec
	s_waitcnt vmcnt(1)
	v_readfirstlane_b32 s14, v12
	v_readfirstlane_b32 s15, v13
	s_and_b64 s[14:15], s[6:7], s[14:15]
	s_mul_i32 s16, s15, 24
	s_mul_hi_u32 s17, s14, 24
	s_mul_i32 s18, s14, 24
	s_add_i32 s16, s17, s16
	v_mov_b32_e32 v3, s16
	s_waitcnt vmcnt(0)
	v_add_co_u32_e32 v10, vcc, s18, v6
	v_addc_co_u32_e32 v11, vcc, v7, v3, vcc
	s_and_saveexec_b64 s[16:17], s[4:5]
	s_cbranch_execz .LBB1_234
; %bb.233:
	v_pk_mov_b32 v[12:13], s[12:13], s[12:13] op_sel:[0,1]
	v_mov_b32_e32 v14, 2
	v_mov_b32_e32 v15, 1
	global_store_dwordx4 v[10:11], v[12:15], off offset:8
.LBB1_234:
	s_or_b64 exec, exec, s[16:17]
	s_lshl_b64 s[12:13], s[14:15], 12
	v_mov_b32_e32 v3, s13
	v_add_co_u32_e32 v12, vcc, s12, v8
	s_movk_i32 s12, 0xff1f
	v_addc_co_u32_e32 v13, vcc, v9, v3, vcc
	v_and_or_b32 v0, v0, s12, 32
	s_mov_b32 s12, 0
	v_mov_b32_e32 v3, v2
	v_readfirstlane_b32 s16, v12
	v_readfirstlane_b32 s17, v13
	s_mov_b32 s13, s12
	v_add_co_u32_e32 v8, vcc, v12, v36
	s_mov_b32 s14, s12
	s_mov_b32 s15, s12
	s_nop 0
	global_store_dwordx4 v36, v[0:3], s[16:17]
	v_addc_co_u32_e32 v9, vcc, 0, v13, vcc
	v_pk_mov_b32 v[0:1], s[12:13], s[12:13] op_sel:[0,1]
	v_pk_mov_b32 v[2:3], s[14:15], s[14:15] op_sel:[0,1]
	global_store_dwordx4 v36, v[0:3], s[16:17] offset:16
	global_store_dwordx4 v36, v[0:3], s[16:17] offset:32
	;; [unrolled: 1-line block ×3, first 2 shown]
	s_and_saveexec_b64 s[12:13], s[4:5]
	s_cbranch_execz .LBB1_242
; %bb.235:
	v_mov_b32_e32 v12, 0
	global_load_dwordx2 v[16:17], v12, s[10:11] offset:32 glc
	global_load_dwordx2 v[0:1], v12, s[10:11] offset:40
	v_mov_b32_e32 v14, s6
	v_mov_b32_e32 v15, s7
	s_waitcnt vmcnt(0)
	v_readfirstlane_b32 s14, v0
	v_readfirstlane_b32 s15, v1
	s_and_b64 s[14:15], s[14:15], s[6:7]
	s_mul_i32 s15, s15, 24
	s_mul_hi_u32 s16, s14, 24
	s_mul_i32 s14, s14, 24
	s_add_i32 s15, s16, s15
	v_mov_b32_e32 v0, s15
	v_add_co_u32_e32 v6, vcc, s14, v6
	v_addc_co_u32_e32 v7, vcc, v7, v0, vcc
	global_store_dwordx2 v[6:7], v[16:17], off
	buffer_wbl2
	s_waitcnt vmcnt(0)
	global_atomic_cmpswap_x2 v[2:3], v12, v[14:17], s[10:11] offset:32 glc
	s_waitcnt vmcnt(0)
	v_cmp_ne_u64_e32 vcc, v[2:3], v[16:17]
	s_and_saveexec_b64 s[14:15], vcc
	s_cbranch_execz .LBB1_238
; %bb.236:
	s_mov_b64 s[16:17], 0
.LBB1_237:                              ; =>This Inner Loop Header: Depth=1
	s_sleep 1
	global_store_dwordx2 v[6:7], v[2:3], off
	v_mov_b32_e32 v0, s6
	v_mov_b32_e32 v1, s7
	buffer_wbl2
	s_waitcnt vmcnt(0)
	global_atomic_cmpswap_x2 v[0:1], v12, v[0:3], s[10:11] offset:32 glc
	s_waitcnt vmcnt(0)
	v_cmp_eq_u64_e32 vcc, v[0:1], v[2:3]
	s_or_b64 s[16:17], vcc, s[16:17]
	v_pk_mov_b32 v[2:3], v[0:1], v[0:1] op_sel:[0,1]
	s_andn2_b64 exec, exec, s[16:17]
	s_cbranch_execnz .LBB1_237
.LBB1_238:
	s_or_b64 exec, exec, s[14:15]
	v_mov_b32_e32 v3, 0
	global_load_dwordx2 v[0:1], v3, s[10:11] offset:16
	s_mov_b64 s[14:15], exec
	v_mbcnt_lo_u32_b32 v2, s14, 0
	v_mbcnt_hi_u32_b32 v2, s15, v2
	v_cmp_eq_u32_e32 vcc, 0, v2
	s_and_saveexec_b64 s[16:17], vcc
	s_cbranch_execz .LBB1_240
; %bb.239:
	s_bcnt1_i32_b64 s14, s[14:15]
	v_mov_b32_e32 v2, s14
	buffer_wbl2
	s_waitcnt vmcnt(0)
	global_atomic_add_x2 v[0:1], v[2:3], off offset:8
.LBB1_240:
	s_or_b64 exec, exec, s[16:17]
	s_waitcnt vmcnt(0)
	global_load_dwordx2 v[2:3], v[0:1], off offset:16
	s_waitcnt vmcnt(0)
	v_cmp_eq_u64_e32 vcc, 0, v[2:3]
	s_cbranch_vccnz .LBB1_242
; %bb.241:
	global_load_dword v0, v[0:1], off offset:24
	v_mov_b32_e32 v1, 0
	buffer_wbl2
	s_waitcnt vmcnt(0)
	global_store_dwordx2 v[2:3], v[0:1], off
	v_and_b32_e32 v0, 0xffffff, v0
	v_readfirstlane_b32 m0, v0
	s_sendmsg sendmsg(MSG_INTERRUPT)
.LBB1_242:
	s_or_b64 exec, exec, s[12:13]
	s_branch .LBB1_246
.LBB1_243:                              ;   in Loop: Header=BB1_246 Depth=1
	s_or_b64 exec, exec, s[12:13]
	v_readfirstlane_b32 s12, v0
	s_cmp_eq_u32 s12, 0
	s_cbranch_scc1 .LBB1_245
; %bb.244:                              ;   in Loop: Header=BB1_246 Depth=1
	s_sleep 1
	s_cbranch_execnz .LBB1_246
	s_branch .LBB1_248
.LBB1_245:
	s_branch .LBB1_248
.LBB1_246:                              ; =>This Inner Loop Header: Depth=1
	v_mov_b32_e32 v0, 1
	s_and_saveexec_b64 s[12:13], s[4:5]
	s_cbranch_execz .LBB1_243
; %bb.247:                              ;   in Loop: Header=BB1_246 Depth=1
	global_load_dword v0, v[10:11], off offset:20 glc
	s_waitcnt vmcnt(0)
	buffer_invl2
	buffer_wbinvl1_vol
	v_and_b32_e32 v0, 1, v0
	s_branch .LBB1_243
.LBB1_248:
	global_load_dwordx2 v[6:7], v[8:9], off
	s_and_saveexec_b64 s[12:13], s[4:5]
	s_cbranch_execz .LBB1_251
; %bb.249:
	v_mov_b32_e32 v10, 0
	global_load_dwordx2 v[8:9], v10, s[10:11] offset:40
	global_load_dwordx2 v[12:13], v10, s[10:11] offset:24 glc
	global_load_dwordx2 v[14:15], v10, s[10:11]
	v_mov_b32_e32 v1, s7
	s_mov_b64 s[4:5], 0
	s_waitcnt vmcnt(2)
	v_add_co_u32_e32 v3, vcc, 1, v8
	v_addc_co_u32_e32 v11, vcc, 0, v9, vcc
	v_add_co_u32_e32 v0, vcc, s6, v3
	v_addc_co_u32_e32 v1, vcc, v11, v1, vcc
	v_cmp_eq_u64_e32 vcc, 0, v[0:1]
	v_cndmask_b32_e32 v1, v1, v11, vcc
	v_cndmask_b32_e32 v0, v0, v3, vcc
	v_and_b32_e32 v3, v1, v9
	v_and_b32_e32 v8, v0, v8
	v_mul_lo_u32 v3, v3, 24
	v_mul_hi_u32 v9, v8, 24
	v_mul_lo_u32 v8, v8, 24
	v_add_u32_e32 v3, v9, v3
	s_waitcnt vmcnt(0)
	v_add_co_u32_e32 v8, vcc, v14, v8
	v_addc_co_u32_e32 v9, vcc, v15, v3, vcc
	v_mov_b32_e32 v2, v12
	global_store_dwordx2 v[8:9], v[12:13], off
	v_mov_b32_e32 v3, v13
	buffer_wbl2
	s_waitcnt vmcnt(0)
	global_atomic_cmpswap_x2 v[2:3], v10, v[0:3], s[10:11] offset:24 glc
	s_waitcnt vmcnt(0)
	v_cmp_ne_u64_e32 vcc, v[2:3], v[12:13]
	s_and_b64 exec, exec, vcc
	s_cbranch_execz .LBB1_251
.LBB1_250:                              ; =>This Inner Loop Header: Depth=1
	s_sleep 1
	global_store_dwordx2 v[8:9], v[2:3], off
	buffer_wbl2
	s_waitcnt vmcnt(0)
	global_atomic_cmpswap_x2 v[12:13], v10, v[0:3], s[10:11] offset:24 glc
	s_waitcnt vmcnt(0)
	v_cmp_eq_u64_e32 vcc, v[12:13], v[2:3]
	s_or_b64 s[4:5], vcc, s[4:5]
	v_pk_mov_b32 v[2:3], v[12:13], v[12:13] op_sel:[0,1]
	s_andn2_b64 exec, exec, s[4:5]
	s_cbranch_execnz .LBB1_250
.LBB1_251:
	s_or_b64 exec, exec, s[12:13]
.LBB1_252:
	v_readfirstlane_b32 s4, v37
	v_cmp_eq_u32_e64 s[4:5], s4, v37
	v_pk_mov_b32 v[10:11], 0, 0
	s_and_saveexec_b64 s[6:7], s[4:5]
	s_cbranch_execz .LBB1_258
; %bb.253:
	s_waitcnt vmcnt(0)
	v_mov_b32_e32 v0, 0
	global_load_dwordx2 v[12:13], v0, s[10:11] offset:24 glc
	s_waitcnt vmcnt(0)
	buffer_invl2
	buffer_wbinvl1_vol
	global_load_dwordx2 v[2:3], v0, s[10:11] offset:40
	global_load_dwordx2 v[8:9], v0, s[10:11]
	s_waitcnt vmcnt(1)
	v_and_b32_e32 v1, v2, v12
	v_and_b32_e32 v2, v3, v13
	v_mul_lo_u32 v2, v2, 24
	v_mul_hi_u32 v3, v1, 24
	v_mul_lo_u32 v1, v1, 24
	v_add_u32_e32 v3, v3, v2
	s_waitcnt vmcnt(0)
	v_add_co_u32_e32 v2, vcc, v8, v1
	v_addc_co_u32_e32 v3, vcc, v9, v3, vcc
	global_load_dwordx2 v[10:11], v[2:3], off glc
	s_waitcnt vmcnt(0)
	global_atomic_cmpswap_x2 v[10:11], v0, v[10:13], s[10:11] offset:24 glc
	s_waitcnt vmcnt(0)
	buffer_invl2
	buffer_wbinvl1_vol
	v_cmp_ne_u64_e32 vcc, v[10:11], v[12:13]
	s_and_saveexec_b64 s[12:13], vcc
	s_cbranch_execz .LBB1_257
; %bb.254:
	s_mov_b64 s[14:15], 0
.LBB1_255:                              ; =>This Inner Loop Header: Depth=1
	s_sleep 1
	global_load_dwordx2 v[2:3], v0, s[10:11] offset:40
	global_load_dwordx2 v[8:9], v0, s[10:11]
	v_pk_mov_b32 v[12:13], v[10:11], v[10:11] op_sel:[0,1]
	s_waitcnt vmcnt(1)
	v_and_b32_e32 v2, v2, v12
	v_and_b32_e32 v1, v3, v13
	s_waitcnt vmcnt(0)
	v_mad_u64_u32 v[2:3], s[16:17], v2, 24, v[8:9]
	v_mov_b32_e32 v8, v3
	v_mad_u64_u32 v[8:9], s[16:17], v1, 24, v[8:9]
	v_mov_b32_e32 v3, v8
	global_load_dwordx2 v[10:11], v[2:3], off glc
	s_waitcnt vmcnt(0)
	global_atomic_cmpswap_x2 v[10:11], v0, v[10:13], s[10:11] offset:24 glc
	s_waitcnt vmcnt(0)
	buffer_invl2
	buffer_wbinvl1_vol
	v_cmp_eq_u64_e32 vcc, v[10:11], v[12:13]
	s_or_b64 s[14:15], vcc, s[14:15]
	s_andn2_b64 exec, exec, s[14:15]
	s_cbranch_execnz .LBB1_255
; %bb.256:
	s_or_b64 exec, exec, s[14:15]
.LBB1_257:
	s_or_b64 exec, exec, s[12:13]
.LBB1_258:
	s_or_b64 exec, exec, s[6:7]
	s_waitcnt vmcnt(0)
	v_mov_b32_e32 v9, 0
	global_load_dwordx2 v[12:13], v9, s[10:11] offset:40
	global_load_dwordx4 v[0:3], v9, s[10:11]
	v_readfirstlane_b32 s6, v10
	v_readfirstlane_b32 s7, v11
	s_mov_b64 s[12:13], exec
	s_waitcnt vmcnt(1)
	v_readfirstlane_b32 s14, v12
	v_readfirstlane_b32 s15, v13
	s_and_b64 s[14:15], s[6:7], s[14:15]
	s_mul_i32 s16, s15, 24
	s_mul_hi_u32 s17, s14, 24
	s_mul_i32 s18, s14, 24
	s_add_i32 s16, s17, s16
	v_mov_b32_e32 v8, s16
	s_waitcnt vmcnt(0)
	v_add_co_u32_e32 v10, vcc, s18, v0
	v_addc_co_u32_e32 v11, vcc, v1, v8, vcc
	s_and_saveexec_b64 s[16:17], s[4:5]
	s_cbranch_execz .LBB1_260
; %bb.259:
	v_pk_mov_b32 v[12:13], s[12:13], s[12:13] op_sel:[0,1]
	v_mov_b32_e32 v14, 2
	v_mov_b32_e32 v15, 1
	global_store_dwordx4 v[10:11], v[12:15], off offset:8
.LBB1_260:
	s_or_b64 exec, exec, s[16:17]
	s_lshl_b64 s[12:13], s[14:15], 12
	v_mov_b32_e32 v8, s13
	v_add_co_u32_e32 v2, vcc, s12, v2
	s_movk_i32 s12, 0xff1f
	v_addc_co_u32_e32 v3, vcc, v3, v8, vcc
	v_and_or_b32 v6, v6, s12, 32
	s_mov_b32 s12, 0
	v_mov_b32_e32 v8, 0x331
	v_readfirstlane_b32 s16, v2
	v_readfirstlane_b32 s17, v3
	s_mov_b32 s13, s12
	v_add_co_u32_e32 v12, vcc, v2, v36
	s_mov_b32 s14, s12
	s_mov_b32 s15, s12
	s_nop 0
	global_store_dwordx4 v36, v[6:9], s[16:17]
	v_addc_co_u32_e32 v13, vcc, 0, v3, vcc
	v_pk_mov_b32 v[6:7], s[12:13], s[12:13] op_sel:[0,1]
	v_pk_mov_b32 v[8:9], s[14:15], s[14:15] op_sel:[0,1]
	global_store_dwordx4 v36, v[6:9], s[16:17] offset:16
	global_store_dwordx4 v36, v[6:9], s[16:17] offset:32
	;; [unrolled: 1-line block ×3, first 2 shown]
	s_and_saveexec_b64 s[12:13], s[4:5]
	s_cbranch_execz .LBB1_268
; %bb.261:
	v_mov_b32_e32 v8, 0
	global_load_dwordx2 v[16:17], v8, s[10:11] offset:32 glc
	global_load_dwordx2 v[2:3], v8, s[10:11] offset:40
	v_mov_b32_e32 v14, s6
	v_mov_b32_e32 v15, s7
	s_waitcnt vmcnt(0)
	v_readfirstlane_b32 s14, v2
	v_readfirstlane_b32 s15, v3
	s_and_b64 s[14:15], s[14:15], s[6:7]
	s_mul_i32 s15, s15, 24
	s_mul_hi_u32 s16, s14, 24
	s_mul_i32 s14, s14, 24
	s_add_i32 s15, s16, s15
	v_mov_b32_e32 v2, s15
	v_add_co_u32_e32 v6, vcc, s14, v0
	v_addc_co_u32_e32 v7, vcc, v1, v2, vcc
	global_store_dwordx2 v[6:7], v[16:17], off
	buffer_wbl2
	s_waitcnt vmcnt(0)
	global_atomic_cmpswap_x2 v[2:3], v8, v[14:17], s[10:11] offset:32 glc
	s_waitcnt vmcnt(0)
	v_cmp_ne_u64_e32 vcc, v[2:3], v[16:17]
	s_and_saveexec_b64 s[14:15], vcc
	s_cbranch_execz .LBB1_264
; %bb.262:
	s_mov_b64 s[16:17], 0
.LBB1_263:                              ; =>This Inner Loop Header: Depth=1
	s_sleep 1
	global_store_dwordx2 v[6:7], v[2:3], off
	v_mov_b32_e32 v0, s6
	v_mov_b32_e32 v1, s7
	buffer_wbl2
	s_waitcnt vmcnt(0)
	global_atomic_cmpswap_x2 v[0:1], v8, v[0:3], s[10:11] offset:32 glc
	s_waitcnt vmcnt(0)
	v_cmp_eq_u64_e32 vcc, v[0:1], v[2:3]
	s_or_b64 s[16:17], vcc, s[16:17]
	v_pk_mov_b32 v[2:3], v[0:1], v[0:1] op_sel:[0,1]
	s_andn2_b64 exec, exec, s[16:17]
	s_cbranch_execnz .LBB1_263
.LBB1_264:
	s_or_b64 exec, exec, s[14:15]
	v_mov_b32_e32 v3, 0
	global_load_dwordx2 v[0:1], v3, s[10:11] offset:16
	s_mov_b64 s[14:15], exec
	v_mbcnt_lo_u32_b32 v2, s14, 0
	v_mbcnt_hi_u32_b32 v2, s15, v2
	v_cmp_eq_u32_e32 vcc, 0, v2
	s_and_saveexec_b64 s[16:17], vcc
	s_cbranch_execz .LBB1_266
; %bb.265:
	s_bcnt1_i32_b64 s14, s[14:15]
	v_mov_b32_e32 v2, s14
	buffer_wbl2
	s_waitcnt vmcnt(0)
	global_atomic_add_x2 v[0:1], v[2:3], off offset:8
.LBB1_266:
	s_or_b64 exec, exec, s[16:17]
	s_waitcnt vmcnt(0)
	global_load_dwordx2 v[2:3], v[0:1], off offset:16
	s_waitcnt vmcnt(0)
	v_cmp_eq_u64_e32 vcc, 0, v[2:3]
	s_cbranch_vccnz .LBB1_268
; %bb.267:
	global_load_dword v0, v[0:1], off offset:24
	v_mov_b32_e32 v1, 0
	buffer_wbl2
	s_waitcnt vmcnt(0)
	global_store_dwordx2 v[2:3], v[0:1], off
	v_and_b32_e32 v0, 0xffffff, v0
	v_readfirstlane_b32 m0, v0
	s_sendmsg sendmsg(MSG_INTERRUPT)
.LBB1_268:
	s_or_b64 exec, exec, s[12:13]
	s_branch .LBB1_272
.LBB1_269:                              ;   in Loop: Header=BB1_272 Depth=1
	s_or_b64 exec, exec, s[12:13]
	v_readfirstlane_b32 s12, v0
	s_cmp_eq_u32 s12, 0
	s_cbranch_scc1 .LBB1_271
; %bb.270:                              ;   in Loop: Header=BB1_272 Depth=1
	s_sleep 1
	s_cbranch_execnz .LBB1_272
	s_branch .LBB1_274
.LBB1_271:
	s_branch .LBB1_274
.LBB1_272:                              ; =>This Inner Loop Header: Depth=1
	v_mov_b32_e32 v0, 1
	s_and_saveexec_b64 s[12:13], s[4:5]
	s_cbranch_execz .LBB1_269
; %bb.273:                              ;   in Loop: Header=BB1_272 Depth=1
	global_load_dword v0, v[10:11], off offset:20 glc
	s_waitcnt vmcnt(0)
	buffer_invl2
	buffer_wbinvl1_vol
	v_and_b32_e32 v0, 1, v0
	s_branch .LBB1_269
.LBB1_274:
	global_load_dwordx2 v[0:1], v[12:13], off
	s_and_saveexec_b64 s[12:13], s[4:5]
	s_cbranch_execz .LBB1_277
; %bb.275:
	v_mov_b32_e32 v10, 0
	global_load_dwordx2 v[2:3], v10, s[10:11] offset:40
	global_load_dwordx2 v[12:13], v10, s[10:11] offset:24 glc
	global_load_dwordx2 v[14:15], v10, s[10:11]
	v_mov_b32_e32 v7, s7
	s_mov_b64 s[4:5], 0
	s_waitcnt vmcnt(2)
	v_add_co_u32_e32 v9, vcc, 1, v2
	v_addc_co_u32_e32 v11, vcc, 0, v3, vcc
	v_add_co_u32_e32 v6, vcc, s6, v9
	v_addc_co_u32_e32 v7, vcc, v11, v7, vcc
	v_cmp_eq_u64_e32 vcc, 0, v[6:7]
	v_cndmask_b32_e32 v7, v7, v11, vcc
	v_cndmask_b32_e32 v6, v6, v9, vcc
	v_and_b32_e32 v3, v7, v3
	v_and_b32_e32 v2, v6, v2
	v_mul_lo_u32 v3, v3, 24
	v_mul_hi_u32 v9, v2, 24
	v_mul_lo_u32 v2, v2, 24
	v_add_u32_e32 v3, v9, v3
	s_waitcnt vmcnt(0)
	v_add_co_u32_e32 v2, vcc, v14, v2
	v_addc_co_u32_e32 v3, vcc, v15, v3, vcc
	v_mov_b32_e32 v8, v12
	global_store_dwordx2 v[2:3], v[12:13], off
	v_mov_b32_e32 v9, v13
	buffer_wbl2
	s_waitcnt vmcnt(0)
	global_atomic_cmpswap_x2 v[8:9], v10, v[6:9], s[10:11] offset:24 glc
	s_waitcnt vmcnt(0)
	v_cmp_ne_u64_e32 vcc, v[8:9], v[12:13]
	s_and_b64 exec, exec, vcc
	s_cbranch_execz .LBB1_277
.LBB1_276:                              ; =>This Inner Loop Header: Depth=1
	s_sleep 1
	global_store_dwordx2 v[2:3], v[8:9], off
	buffer_wbl2
	s_waitcnt vmcnt(0)
	global_atomic_cmpswap_x2 v[12:13], v10, v[6:9], s[10:11] offset:24 glc
	s_waitcnt vmcnt(0)
	v_cmp_eq_u64_e32 vcc, v[12:13], v[8:9]
	s_or_b64 s[4:5], vcc, s[4:5]
	v_pk_mov_b32 v[8:9], v[12:13], v[12:13] op_sel:[0,1]
	s_andn2_b64 exec, exec, s[4:5]
	s_cbranch_execnz .LBB1_276
.LBB1_277:
	s_or_b64 exec, exec, s[12:13]
	s_mov_b64 s[4:5], 0
	v_pk_mov_b32 v[6:7], v[4:5], v[4:5] op_sel:[0,1]
.LBB1_278:                              ; =>This Inner Loop Header: Depth=1
	flat_load_ubyte v8, v[6:7]
	v_add_co_u32_e32 v2, vcc, 1, v6
	v_addc_co_u32_e32 v3, vcc, 0, v7, vcc
	v_pk_mov_b32 v[6:7], v[2:3], v[2:3] op_sel:[0,1]
	s_waitcnt vmcnt(0) lgkmcnt(0)
	v_cmp_eq_u16_e32 vcc, 0, v8
	s_or_b64 s[4:5], vcc, s[4:5]
	s_andn2_b64 exec, exec, s[4:5]
	s_cbranch_execnz .LBB1_278
; %bb.279:
	s_or_b64 exec, exec, s[4:5]
	s_mov_b64 s[6:7], 0
	v_cmp_ne_u64_e32 vcc, 0, v[4:5]
	s_and_saveexec_b64 s[4:5], vcc
	s_xor_b64 s[12:13], exec, s[4:5]
	s_cbranch_execz .LBB1_365
; %bb.280:
	v_sub_u32_e32 v26, v2, v4
	v_ashrrev_i32_e32 v27, 31, v26
	v_and_b32_e32 v28, 2, v0
	v_mov_b32_e32 v31, 0
	v_and_b32_e32 v0, -3, v0
	s_mov_b32 s22, 0
	s_movk_i32 s23, 0xff1f
	v_mov_b32_e32 v8, 2
	v_mov_b32_e32 v9, 1
	s_branch .LBB1_282
.LBB1_281:                              ;   in Loop: Header=BB1_282 Depth=1
	s_or_b64 exec, exec, s[16:17]
	v_sub_co_u32_e32 v26, vcc, v26, v32
	v_subb_co_u32_e32 v27, vcc, v27, v33, vcc
	v_cmp_eq_u64_e32 vcc, 0, v[26:27]
	s_or_b64 s[6:7], vcc, s[6:7]
	v_add_co_u32_e32 v4, vcc, v4, v32
	v_addc_co_u32_e32 v5, vcc, v5, v33, vcc
	s_andn2_b64 exec, exec, s[6:7]
	s_cbranch_execz .LBB1_364
.LBB1_282:                              ; =>This Loop Header: Depth=1
                                        ;     Child Loop BB1_285 Depth 2
                                        ;     Child Loop BB1_293 Depth 2
                                        ;     Child Loop BB1_301 Depth 2
                                        ;     Child Loop BB1_309 Depth 2
                                        ;     Child Loop BB1_317 Depth 2
                                        ;     Child Loop BB1_325 Depth 2
                                        ;     Child Loop BB1_333 Depth 2
                                        ;     Child Loop BB1_341 Depth 2
                                        ;     Child Loop BB1_349 Depth 2
                                        ;     Child Loop BB1_358 Depth 2
                                        ;     Child Loop BB1_363 Depth 2
	v_cmp_gt_u64_e32 vcc, 56, v[26:27]
	v_cndmask_b32_e32 v33, 0, v27, vcc
	v_cndmask_b32_e32 v32, 56, v26, vcc
	v_cmp_gt_u64_e32 vcc, 8, v[26:27]
                                        ; implicit-def: $vgpr2_vgpr3
                                        ; implicit-def: $sgpr14
	s_and_saveexec_b64 s[4:5], vcc
	s_xor_b64 s[4:5], exec, s[4:5]
	s_cbranch_execz .LBB1_288
; %bb.283:                              ;   in Loop: Header=BB1_282 Depth=1
	s_mov_b64 s[16:17], 0
	v_cmp_ne_u64_e32 vcc, 0, v[26:27]
	s_waitcnt vmcnt(0)
	v_pk_mov_b32 v[2:3], 0, 0
	s_and_saveexec_b64 s[14:15], vcc
	s_cbranch_execz .LBB1_287
; %bb.284:                              ;   in Loop: Header=BB1_282 Depth=1
	v_lshlrev_b64 v[6:7], 3, v[32:33]
	v_pk_mov_b32 v[2:3], 0, 0
	v_pk_mov_b32 v[10:11], v[4:5], v[4:5] op_sel:[0,1]
	s_mov_b64 s[18:19], 0
.LBB1_285:                              ;   Parent Loop BB1_282 Depth=1
                                        ; =>  This Inner Loop Header: Depth=2
	flat_load_ubyte v7, v[10:11]
	v_mov_b32_e32 v13, s22
	v_add_co_u32_e32 v10, vcc, 1, v10
	v_addc_co_u32_e32 v11, vcc, 0, v11, vcc
	s_waitcnt vmcnt(0) lgkmcnt(0)
	v_and_b32_e32 v12, 0xffff, v7
	v_lshlrev_b64 v[12:13], s18, v[12:13]
	s_add_u32 s18, s18, 8
	s_addc_u32 s19, s19, 0
	v_cmp_eq_u32_e32 vcc, s18, v6
	v_or_b32_e32 v3, v13, v3
	s_or_b64 s[16:17], vcc, s[16:17]
	v_or_b32_e32 v2, v12, v2
	s_andn2_b64 exec, exec, s[16:17]
	s_cbranch_execnz .LBB1_285
; %bb.286:                              ;   in Loop: Header=BB1_282 Depth=1
	s_or_b64 exec, exec, s[16:17]
.LBB1_287:                              ;   in Loop: Header=BB1_282 Depth=1
	s_or_b64 exec, exec, s[14:15]
	s_mov_b32 s14, 0
.LBB1_288:                              ;   in Loop: Header=BB1_282 Depth=1
	s_or_saveexec_b64 s[4:5], s[4:5]
	v_mov_b32_e32 v12, s14
	v_pk_mov_b32 v[6:7], v[4:5], v[4:5] op_sel:[0,1]
	s_xor_b64 exec, exec, s[4:5]
	s_cbranch_execz .LBB1_290
; %bb.289:                              ;   in Loop: Header=BB1_282 Depth=1
	s_waitcnt vmcnt(0)
	flat_load_dwordx2 v[2:3], v[4:5]
	v_add_u32_e32 v12, -8, v32
	s_waitcnt vmcnt(0) lgkmcnt(0)
	v_and_b32_e32 v6, 0xff, v3
	v_and_b32_e32 v7, 0xff00, v3
	;; [unrolled: 1-line block ×4, first 2 shown]
	v_or_b32_e32 v6, v6, v7
	v_or3_b32 v3, v6, v10, v3
	v_add_co_u32_e32 v6, vcc, 8, v4
	v_or3_b32 v2, v2, 0, 0
	v_addc_co_u32_e32 v7, vcc, 0, v5, vcc
.LBB1_290:                              ;   in Loop: Header=BB1_282 Depth=1
	s_or_b64 exec, exec, s[4:5]
	v_cmp_gt_u32_e32 vcc, 8, v12
                                        ; implicit-def: $vgpr10_vgpr11
                                        ; implicit-def: $sgpr14
	s_and_saveexec_b64 s[4:5], vcc
	s_xor_b64 s[4:5], exec, s[4:5]
	s_cbranch_execz .LBB1_296
; %bb.291:                              ;   in Loop: Header=BB1_282 Depth=1
	v_cmp_ne_u32_e32 vcc, 0, v12
	v_pk_mov_b32 v[10:11], 0, 0
	s_and_saveexec_b64 s[14:15], vcc
	s_cbranch_execz .LBB1_295
; %bb.292:                              ;   in Loop: Header=BB1_282 Depth=1
	s_mov_b64 s[16:17], 0
	v_pk_mov_b32 v[10:11], 0, 0
	s_mov_b64 s[18:19], 0
	s_mov_b64 s[20:21], 0
.LBB1_293:                              ;   Parent Loop BB1_282 Depth=1
                                        ; =>  This Inner Loop Header: Depth=2
	v_mov_b32_e32 v13, s21
	v_add_co_u32_e32 v14, vcc, s20, v6
	v_addc_co_u32_e32 v15, vcc, v7, v13, vcc
	flat_load_ubyte v13, v[14:15]
	s_add_u32 s20, s20, 1
	v_mov_b32_e32 v15, s22
	s_addc_u32 s21, s21, 0
	v_cmp_eq_u32_e32 vcc, s20, v12
	s_waitcnt vmcnt(0) lgkmcnt(0)
	v_and_b32_e32 v14, 0xffff, v13
	v_lshlrev_b64 v[14:15], s18, v[14:15]
	s_add_u32 s18, s18, 8
	s_addc_u32 s19, s19, 0
	v_or_b32_e32 v11, v15, v11
	s_or_b64 s[16:17], vcc, s[16:17]
	v_or_b32_e32 v10, v14, v10
	s_andn2_b64 exec, exec, s[16:17]
	s_cbranch_execnz .LBB1_293
; %bb.294:                              ;   in Loop: Header=BB1_282 Depth=1
	s_or_b64 exec, exec, s[16:17]
.LBB1_295:                              ;   in Loop: Header=BB1_282 Depth=1
	s_or_b64 exec, exec, s[14:15]
	s_mov_b32 s14, 0
                                        ; implicit-def: $vgpr12
.LBB1_296:                              ;   in Loop: Header=BB1_282 Depth=1
	s_or_saveexec_b64 s[4:5], s[4:5]
	v_mov_b32_e32 v14, s14
	s_xor_b64 exec, exec, s[4:5]
	s_cbranch_execz .LBB1_298
; %bb.297:                              ;   in Loop: Header=BB1_282 Depth=1
	flat_load_dwordx2 v[10:11], v[6:7]
	v_add_u32_e32 v14, -8, v12
	v_add_co_u32_e32 v6, vcc, 8, v6
	v_addc_co_u32_e32 v7, vcc, 0, v7, vcc
	s_waitcnt vmcnt(0) lgkmcnt(0)
	v_and_b32_e32 v12, 0xff, v11
	v_and_b32_e32 v13, 0xff00, v11
	;; [unrolled: 1-line block ×4, first 2 shown]
	v_or_b32_e32 v12, v12, v13
	v_or3_b32 v10, v10, 0, 0
	v_or3_b32 v11, v12, v15, v11
.LBB1_298:                              ;   in Loop: Header=BB1_282 Depth=1
	s_or_b64 exec, exec, s[4:5]
	v_cmp_gt_u32_e32 vcc, 8, v14
                                        ; implicit-def: $sgpr14
	s_and_saveexec_b64 s[4:5], vcc
	s_xor_b64 s[4:5], exec, s[4:5]
	s_cbranch_execz .LBB1_304
; %bb.299:                              ;   in Loop: Header=BB1_282 Depth=1
	v_cmp_ne_u32_e32 vcc, 0, v14
	v_pk_mov_b32 v[12:13], 0, 0
	s_and_saveexec_b64 s[14:15], vcc
	s_cbranch_execz .LBB1_303
; %bb.300:                              ;   in Loop: Header=BB1_282 Depth=1
	s_mov_b64 s[16:17], 0
	v_pk_mov_b32 v[12:13], 0, 0
	s_mov_b64 s[18:19], 0
	s_mov_b64 s[20:21], 0
.LBB1_301:                              ;   Parent Loop BB1_282 Depth=1
                                        ; =>  This Inner Loop Header: Depth=2
	v_mov_b32_e32 v15, s21
	v_add_co_u32_e32 v16, vcc, s20, v6
	v_addc_co_u32_e32 v17, vcc, v7, v15, vcc
	flat_load_ubyte v15, v[16:17]
	s_add_u32 s20, s20, 1
	v_mov_b32_e32 v17, s22
	s_addc_u32 s21, s21, 0
	v_cmp_eq_u32_e32 vcc, s20, v14
	s_waitcnt vmcnt(0) lgkmcnt(0)
	v_and_b32_e32 v16, 0xffff, v15
	v_lshlrev_b64 v[16:17], s18, v[16:17]
	s_add_u32 s18, s18, 8
	s_addc_u32 s19, s19, 0
	v_or_b32_e32 v13, v17, v13
	s_or_b64 s[16:17], vcc, s[16:17]
	v_or_b32_e32 v12, v16, v12
	s_andn2_b64 exec, exec, s[16:17]
	s_cbranch_execnz .LBB1_301
; %bb.302:                              ;   in Loop: Header=BB1_282 Depth=1
	s_or_b64 exec, exec, s[16:17]
.LBB1_303:                              ;   in Loop: Header=BB1_282 Depth=1
	s_or_b64 exec, exec, s[14:15]
	s_mov_b32 s14, 0
                                        ; implicit-def: $vgpr14
.LBB1_304:                              ;   in Loop: Header=BB1_282 Depth=1
	s_or_saveexec_b64 s[4:5], s[4:5]
	v_mov_b32_e32 v16, s14
	s_xor_b64 exec, exec, s[4:5]
	s_cbranch_execz .LBB1_306
; %bb.305:                              ;   in Loop: Header=BB1_282 Depth=1
	flat_load_dwordx2 v[12:13], v[6:7]
	v_add_u32_e32 v16, -8, v14
	v_add_co_u32_e32 v6, vcc, 8, v6
	v_addc_co_u32_e32 v7, vcc, 0, v7, vcc
	s_waitcnt vmcnt(0) lgkmcnt(0)
	v_and_b32_e32 v14, 0xff, v13
	v_and_b32_e32 v15, 0xff00, v13
	;; [unrolled: 1-line block ×4, first 2 shown]
	v_or_b32_e32 v14, v14, v15
	v_or3_b32 v12, v12, 0, 0
	v_or3_b32 v13, v14, v17, v13
.LBB1_306:                              ;   in Loop: Header=BB1_282 Depth=1
	s_or_b64 exec, exec, s[4:5]
	v_cmp_gt_u32_e32 vcc, 8, v16
                                        ; implicit-def: $vgpr14_vgpr15
                                        ; implicit-def: $sgpr14
	s_and_saveexec_b64 s[4:5], vcc
	s_xor_b64 s[4:5], exec, s[4:5]
	s_cbranch_execz .LBB1_312
; %bb.307:                              ;   in Loop: Header=BB1_282 Depth=1
	v_cmp_ne_u32_e32 vcc, 0, v16
	v_pk_mov_b32 v[14:15], 0, 0
	s_and_saveexec_b64 s[14:15], vcc
	s_cbranch_execz .LBB1_311
; %bb.308:                              ;   in Loop: Header=BB1_282 Depth=1
	s_mov_b64 s[16:17], 0
	v_pk_mov_b32 v[14:15], 0, 0
	s_mov_b64 s[18:19], 0
	s_mov_b64 s[20:21], 0
.LBB1_309:                              ;   Parent Loop BB1_282 Depth=1
                                        ; =>  This Inner Loop Header: Depth=2
	v_mov_b32_e32 v17, s21
	v_add_co_u32_e32 v18, vcc, s20, v6
	v_addc_co_u32_e32 v19, vcc, v7, v17, vcc
	flat_load_ubyte v17, v[18:19]
	s_add_u32 s20, s20, 1
	v_mov_b32_e32 v19, s22
	s_addc_u32 s21, s21, 0
	v_cmp_eq_u32_e32 vcc, s20, v16
	s_waitcnt vmcnt(0) lgkmcnt(0)
	v_and_b32_e32 v18, 0xffff, v17
	v_lshlrev_b64 v[18:19], s18, v[18:19]
	s_add_u32 s18, s18, 8
	s_addc_u32 s19, s19, 0
	v_or_b32_e32 v15, v19, v15
	s_or_b64 s[16:17], vcc, s[16:17]
	v_or_b32_e32 v14, v18, v14
	s_andn2_b64 exec, exec, s[16:17]
	s_cbranch_execnz .LBB1_309
; %bb.310:                              ;   in Loop: Header=BB1_282 Depth=1
	s_or_b64 exec, exec, s[16:17]
.LBB1_311:                              ;   in Loop: Header=BB1_282 Depth=1
	s_or_b64 exec, exec, s[14:15]
	s_mov_b32 s14, 0
                                        ; implicit-def: $vgpr16
.LBB1_312:                              ;   in Loop: Header=BB1_282 Depth=1
	s_or_saveexec_b64 s[4:5], s[4:5]
	v_mov_b32_e32 v18, s14
	s_xor_b64 exec, exec, s[4:5]
	s_cbranch_execz .LBB1_314
; %bb.313:                              ;   in Loop: Header=BB1_282 Depth=1
	flat_load_dwordx2 v[14:15], v[6:7]
	v_add_u32_e32 v18, -8, v16
	v_add_co_u32_e32 v6, vcc, 8, v6
	v_addc_co_u32_e32 v7, vcc, 0, v7, vcc
	s_waitcnt vmcnt(0) lgkmcnt(0)
	v_and_b32_e32 v16, 0xff, v15
	v_and_b32_e32 v17, 0xff00, v15
	;; [unrolled: 1-line block ×4, first 2 shown]
	v_or_b32_e32 v16, v16, v17
	v_or3_b32 v14, v14, 0, 0
	v_or3_b32 v15, v16, v19, v15
.LBB1_314:                              ;   in Loop: Header=BB1_282 Depth=1
	s_or_b64 exec, exec, s[4:5]
	v_cmp_gt_u32_e32 vcc, 8, v18
                                        ; implicit-def: $sgpr14
	s_and_saveexec_b64 s[4:5], vcc
	s_xor_b64 s[4:5], exec, s[4:5]
	s_cbranch_execz .LBB1_320
; %bb.315:                              ;   in Loop: Header=BB1_282 Depth=1
	v_cmp_ne_u32_e32 vcc, 0, v18
	v_pk_mov_b32 v[16:17], 0, 0
	s_and_saveexec_b64 s[14:15], vcc
	s_cbranch_execz .LBB1_319
; %bb.316:                              ;   in Loop: Header=BB1_282 Depth=1
	s_mov_b64 s[16:17], 0
	v_pk_mov_b32 v[16:17], 0, 0
	s_mov_b64 s[18:19], 0
	s_mov_b64 s[20:21], 0
.LBB1_317:                              ;   Parent Loop BB1_282 Depth=1
                                        ; =>  This Inner Loop Header: Depth=2
	v_mov_b32_e32 v19, s21
	v_add_co_u32_e32 v20, vcc, s20, v6
	v_addc_co_u32_e32 v21, vcc, v7, v19, vcc
	flat_load_ubyte v19, v[20:21]
	s_add_u32 s20, s20, 1
	v_mov_b32_e32 v21, s22
	s_addc_u32 s21, s21, 0
	v_cmp_eq_u32_e32 vcc, s20, v18
	s_waitcnt vmcnt(0) lgkmcnt(0)
	v_and_b32_e32 v20, 0xffff, v19
	v_lshlrev_b64 v[20:21], s18, v[20:21]
	s_add_u32 s18, s18, 8
	s_addc_u32 s19, s19, 0
	v_or_b32_e32 v17, v21, v17
	s_or_b64 s[16:17], vcc, s[16:17]
	v_or_b32_e32 v16, v20, v16
	s_andn2_b64 exec, exec, s[16:17]
	s_cbranch_execnz .LBB1_317
; %bb.318:                              ;   in Loop: Header=BB1_282 Depth=1
	s_or_b64 exec, exec, s[16:17]
.LBB1_319:                              ;   in Loop: Header=BB1_282 Depth=1
	s_or_b64 exec, exec, s[14:15]
	s_mov_b32 s14, 0
                                        ; implicit-def: $vgpr18
.LBB1_320:                              ;   in Loop: Header=BB1_282 Depth=1
	s_or_saveexec_b64 s[4:5], s[4:5]
	v_mov_b32_e32 v20, s14
	s_xor_b64 exec, exec, s[4:5]
	s_cbranch_execz .LBB1_322
; %bb.321:                              ;   in Loop: Header=BB1_282 Depth=1
	flat_load_dwordx2 v[16:17], v[6:7]
	v_add_u32_e32 v20, -8, v18
	v_add_co_u32_e32 v6, vcc, 8, v6
	v_addc_co_u32_e32 v7, vcc, 0, v7, vcc
	s_waitcnt vmcnt(0) lgkmcnt(0)
	v_and_b32_e32 v18, 0xff, v17
	v_and_b32_e32 v19, 0xff00, v17
	;; [unrolled: 1-line block ×4, first 2 shown]
	v_or_b32_e32 v18, v18, v19
	v_or3_b32 v16, v16, 0, 0
	v_or3_b32 v17, v18, v21, v17
.LBB1_322:                              ;   in Loop: Header=BB1_282 Depth=1
	s_or_b64 exec, exec, s[4:5]
	v_cmp_gt_u32_e32 vcc, 8, v20
                                        ; implicit-def: $vgpr18_vgpr19
                                        ; implicit-def: $sgpr14
	s_and_saveexec_b64 s[4:5], vcc
	s_xor_b64 s[4:5], exec, s[4:5]
	s_cbranch_execz .LBB1_328
; %bb.323:                              ;   in Loop: Header=BB1_282 Depth=1
	v_cmp_ne_u32_e32 vcc, 0, v20
	v_pk_mov_b32 v[18:19], 0, 0
	s_and_saveexec_b64 s[14:15], vcc
	s_cbranch_execz .LBB1_327
; %bb.324:                              ;   in Loop: Header=BB1_282 Depth=1
	s_mov_b64 s[16:17], 0
	v_pk_mov_b32 v[18:19], 0, 0
	s_mov_b64 s[18:19], 0
	s_mov_b64 s[20:21], 0
.LBB1_325:                              ;   Parent Loop BB1_282 Depth=1
                                        ; =>  This Inner Loop Header: Depth=2
	v_mov_b32_e32 v21, s21
	v_add_co_u32_e32 v22, vcc, s20, v6
	v_addc_co_u32_e32 v23, vcc, v7, v21, vcc
	flat_load_ubyte v21, v[22:23]
	s_add_u32 s20, s20, 1
	v_mov_b32_e32 v23, s22
	s_addc_u32 s21, s21, 0
	v_cmp_eq_u32_e32 vcc, s20, v20
	s_waitcnt vmcnt(0) lgkmcnt(0)
	v_and_b32_e32 v22, 0xffff, v21
	v_lshlrev_b64 v[22:23], s18, v[22:23]
	s_add_u32 s18, s18, 8
	s_addc_u32 s19, s19, 0
	v_or_b32_e32 v19, v23, v19
	s_or_b64 s[16:17], vcc, s[16:17]
	v_or_b32_e32 v18, v22, v18
	s_andn2_b64 exec, exec, s[16:17]
	s_cbranch_execnz .LBB1_325
; %bb.326:                              ;   in Loop: Header=BB1_282 Depth=1
	s_or_b64 exec, exec, s[16:17]
.LBB1_327:                              ;   in Loop: Header=BB1_282 Depth=1
	s_or_b64 exec, exec, s[14:15]
	s_mov_b32 s14, 0
                                        ; implicit-def: $vgpr20
.LBB1_328:                              ;   in Loop: Header=BB1_282 Depth=1
	s_or_saveexec_b64 s[4:5], s[4:5]
	v_mov_b32_e32 v22, s14
	s_xor_b64 exec, exec, s[4:5]
	s_cbranch_execz .LBB1_330
; %bb.329:                              ;   in Loop: Header=BB1_282 Depth=1
	flat_load_dwordx2 v[18:19], v[6:7]
	v_add_u32_e32 v22, -8, v20
	v_add_co_u32_e32 v6, vcc, 8, v6
	v_addc_co_u32_e32 v7, vcc, 0, v7, vcc
	s_waitcnt vmcnt(0) lgkmcnt(0)
	v_and_b32_e32 v20, 0xff, v19
	v_and_b32_e32 v21, 0xff00, v19
	;; [unrolled: 1-line block ×4, first 2 shown]
	v_or_b32_e32 v20, v20, v21
	v_or3_b32 v18, v18, 0, 0
	v_or3_b32 v19, v20, v23, v19
.LBB1_330:                              ;   in Loop: Header=BB1_282 Depth=1
	s_or_b64 exec, exec, s[4:5]
	v_cmp_gt_u32_e32 vcc, 8, v22
	s_and_saveexec_b64 s[4:5], vcc
	s_xor_b64 s[4:5], exec, s[4:5]
	s_cbranch_execz .LBB1_336
; %bb.331:                              ;   in Loop: Header=BB1_282 Depth=1
	v_cmp_ne_u32_e32 vcc, 0, v22
	v_pk_mov_b32 v[20:21], 0, 0
	s_and_saveexec_b64 s[14:15], vcc
	s_cbranch_execz .LBB1_335
; %bb.332:                              ;   in Loop: Header=BB1_282 Depth=1
	s_mov_b64 s[16:17], 0
	v_pk_mov_b32 v[20:21], 0, 0
	s_mov_b64 s[18:19], 0
.LBB1_333:                              ;   Parent Loop BB1_282 Depth=1
                                        ; =>  This Inner Loop Header: Depth=2
	flat_load_ubyte v23, v[6:7]
	v_mov_b32_e32 v25, s22
	v_add_co_u32_e32 v6, vcc, 1, v6
	v_add_u32_e32 v22, -1, v22
	v_addc_co_u32_e32 v7, vcc, 0, v7, vcc
	v_cmp_eq_u32_e32 vcc, 0, v22
	s_waitcnt vmcnt(0) lgkmcnt(0)
	v_and_b32_e32 v24, 0xffff, v23
	v_lshlrev_b64 v[24:25], s18, v[24:25]
	s_add_u32 s18, s18, 8
	s_addc_u32 s19, s19, 0
	v_or_b32_e32 v21, v25, v21
	s_or_b64 s[16:17], vcc, s[16:17]
	v_or_b32_e32 v20, v24, v20
	s_andn2_b64 exec, exec, s[16:17]
	s_cbranch_execnz .LBB1_333
; %bb.334:                              ;   in Loop: Header=BB1_282 Depth=1
	s_or_b64 exec, exec, s[16:17]
.LBB1_335:                              ;   in Loop: Header=BB1_282 Depth=1
	s_or_b64 exec, exec, s[14:15]
                                        ; implicit-def: $vgpr6_vgpr7
.LBB1_336:                              ;   in Loop: Header=BB1_282 Depth=1
	s_andn2_saveexec_b64 s[4:5], s[4:5]
	s_cbranch_execz .LBB1_338
; %bb.337:                              ;   in Loop: Header=BB1_282 Depth=1
	flat_load_dwordx2 v[6:7], v[6:7]
	s_waitcnt vmcnt(0) lgkmcnt(0)
	v_and_b32_e32 v20, 0xff, v7
	v_and_b32_e32 v21, 0xff00, v7
	;; [unrolled: 1-line block ×4, first 2 shown]
	v_or_b32_e32 v20, v20, v21
	v_or3_b32 v21, v20, v22, v7
	v_or3_b32 v20, v6, 0, 0
.LBB1_338:                              ;   in Loop: Header=BB1_282 Depth=1
	s_or_b64 exec, exec, s[4:5]
	v_readfirstlane_b32 s4, v37
	v_cmp_eq_u32_e64 s[4:5], s4, v37
	v_pk_mov_b32 v[6:7], 0, 0
	s_and_saveexec_b64 s[14:15], s[4:5]
	s_cbranch_execz .LBB1_344
; %bb.339:                              ;   in Loop: Header=BB1_282 Depth=1
	global_load_dwordx2 v[24:25], v31, s[10:11] offset:24 glc
	s_waitcnt vmcnt(0)
	buffer_invl2
	buffer_wbinvl1_vol
	global_load_dwordx2 v[6:7], v31, s[10:11] offset:40
	global_load_dwordx2 v[22:23], v31, s[10:11]
	s_waitcnt vmcnt(1)
	v_and_b32_e32 v6, v6, v24
	v_and_b32_e32 v7, v7, v25
	v_mul_lo_u32 v7, v7, 24
	v_mul_hi_u32 v29, v6, 24
	v_mul_lo_u32 v6, v6, 24
	v_add_u32_e32 v7, v29, v7
	s_waitcnt vmcnt(0)
	v_add_co_u32_e32 v6, vcc, v22, v6
	v_addc_co_u32_e32 v7, vcc, v23, v7, vcc
	global_load_dwordx2 v[22:23], v[6:7], off glc
	s_waitcnt vmcnt(0)
	global_atomic_cmpswap_x2 v[6:7], v31, v[22:25], s[10:11] offset:24 glc
	s_waitcnt vmcnt(0)
	buffer_invl2
	buffer_wbinvl1_vol
	v_cmp_ne_u64_e32 vcc, v[6:7], v[24:25]
	s_and_saveexec_b64 s[16:17], vcc
	s_cbranch_execz .LBB1_343
; %bb.340:                              ;   in Loop: Header=BB1_282 Depth=1
	s_mov_b64 s[18:19], 0
.LBB1_341:                              ;   Parent Loop BB1_282 Depth=1
                                        ; =>  This Inner Loop Header: Depth=2
	s_sleep 1
	global_load_dwordx2 v[22:23], v31, s[10:11] offset:40
	global_load_dwordx2 v[34:35], v31, s[10:11]
	v_pk_mov_b32 v[24:25], v[6:7], v[6:7] op_sel:[0,1]
	s_waitcnt vmcnt(1)
	v_and_b32_e32 v6, v22, v24
	s_waitcnt vmcnt(0)
	v_mad_u64_u32 v[6:7], s[20:21], v6, 24, v[34:35]
	v_and_b32_e32 v23, v23, v25
	v_mov_b32_e32 v22, v7
	v_mad_u64_u32 v[22:23], s[20:21], v23, 24, v[22:23]
	v_mov_b32_e32 v7, v22
	global_load_dwordx2 v[22:23], v[6:7], off glc
	s_waitcnt vmcnt(0)
	global_atomic_cmpswap_x2 v[6:7], v31, v[22:25], s[10:11] offset:24 glc
	s_waitcnt vmcnt(0)
	buffer_invl2
	buffer_wbinvl1_vol
	v_cmp_eq_u64_e32 vcc, v[6:7], v[24:25]
	s_or_b64 s[18:19], vcc, s[18:19]
	s_andn2_b64 exec, exec, s[18:19]
	s_cbranch_execnz .LBB1_341
; %bb.342:                              ;   in Loop: Header=BB1_282 Depth=1
	s_or_b64 exec, exec, s[18:19]
.LBB1_343:                              ;   in Loop: Header=BB1_282 Depth=1
	s_or_b64 exec, exec, s[16:17]
.LBB1_344:                              ;   in Loop: Header=BB1_282 Depth=1
	s_or_b64 exec, exec, s[14:15]
	global_load_dwordx2 v[34:35], v31, s[10:11] offset:40
	global_load_dwordx4 v[22:25], v31, s[10:11]
	v_readfirstlane_b32 s14, v6
	v_readfirstlane_b32 s15, v7
	s_mov_b64 s[16:17], exec
	s_waitcnt vmcnt(1)
	v_readfirstlane_b32 s18, v34
	v_readfirstlane_b32 s19, v35
	s_and_b64 s[18:19], s[14:15], s[18:19]
	s_mul_i32 s20, s19, 24
	s_mul_hi_u32 s21, s18, 24
	s_mul_i32 s24, s18, 24
	s_add_i32 s20, s21, s20
	v_mov_b32_e32 v6, s20
	s_waitcnt vmcnt(0)
	v_add_co_u32_e32 v34, vcc, s24, v22
	v_addc_co_u32_e32 v35, vcc, v23, v6, vcc
	s_and_saveexec_b64 s[20:21], s[4:5]
	s_cbranch_execz .LBB1_346
; %bb.345:                              ;   in Loop: Header=BB1_282 Depth=1
	v_pk_mov_b32 v[6:7], s[16:17], s[16:17] op_sel:[0,1]
	global_store_dwordx4 v[34:35], v[6:9], off offset:8
.LBB1_346:                              ;   in Loop: Header=BB1_282 Depth=1
	s_or_b64 exec, exec, s[20:21]
	s_lshl_b64 s[16:17], s[18:19], 12
	v_mov_b32_e32 v7, s17
	v_add_co_u32_e32 v6, vcc, s16, v24
	v_addc_co_u32_e32 v7, vcc, v25, v7, vcc
	v_or_b32_e32 v24, 0, v1
	v_cmp_lt_u64_e32 vcc, 56, v[26:27]
	v_or_b32_e32 v25, v0, v28
	v_cndmask_b32_e32 v1, v24, v1, vcc
	v_lshl_add_u32 v24, v32, 2, 28
	v_cndmask_b32_e32 v0, v25, v0, vcc
	v_and_b32_e32 v24, 0x1e0, v24
	v_and_or_b32 v0, v0, s23, v24
	v_readfirstlane_b32 s16, v6
	v_readfirstlane_b32 s17, v7
	s_nop 4
	global_store_dwordx4 v36, v[0:3], s[16:17]
	global_store_dwordx4 v36, v[10:13], s[16:17] offset:16
	global_store_dwordx4 v36, v[14:17], s[16:17] offset:32
	;; [unrolled: 1-line block ×3, first 2 shown]
	s_and_saveexec_b64 s[16:17], s[4:5]
	s_cbranch_execz .LBB1_354
; %bb.347:                              ;   in Loop: Header=BB1_282 Depth=1
	global_load_dwordx2 v[14:15], v31, s[10:11] offset:32 glc
	global_load_dwordx2 v[0:1], v31, s[10:11] offset:40
	v_mov_b32_e32 v12, s14
	v_mov_b32_e32 v13, s15
	s_waitcnt vmcnt(0)
	v_readfirstlane_b32 s18, v0
	v_readfirstlane_b32 s19, v1
	s_and_b64 s[18:19], s[18:19], s[14:15]
	s_mul_i32 s19, s19, 24
	s_mul_hi_u32 s20, s18, 24
	s_mul_i32 s18, s18, 24
	s_add_i32 s19, s20, s19
	v_mov_b32_e32 v0, s19
	v_add_co_u32_e32 v10, vcc, s18, v22
	v_addc_co_u32_e32 v11, vcc, v23, v0, vcc
	global_store_dwordx2 v[10:11], v[14:15], off
	buffer_wbl2
	s_waitcnt vmcnt(0)
	global_atomic_cmpswap_x2 v[2:3], v31, v[12:15], s[10:11] offset:32 glc
	s_waitcnt vmcnt(0)
	v_cmp_ne_u64_e32 vcc, v[2:3], v[14:15]
	s_and_saveexec_b64 s[18:19], vcc
	s_cbranch_execz .LBB1_350
; %bb.348:                              ;   in Loop: Header=BB1_282 Depth=1
	s_mov_b64 s[20:21], 0
.LBB1_349:                              ;   Parent Loop BB1_282 Depth=1
                                        ; =>  This Inner Loop Header: Depth=2
	s_sleep 1
	global_store_dwordx2 v[10:11], v[2:3], off
	v_mov_b32_e32 v0, s14
	v_mov_b32_e32 v1, s15
	buffer_wbl2
	s_waitcnt vmcnt(0)
	global_atomic_cmpswap_x2 v[0:1], v31, v[0:3], s[10:11] offset:32 glc
	s_waitcnt vmcnt(0)
	v_cmp_eq_u64_e32 vcc, v[0:1], v[2:3]
	s_or_b64 s[20:21], vcc, s[20:21]
	v_pk_mov_b32 v[2:3], v[0:1], v[0:1] op_sel:[0,1]
	s_andn2_b64 exec, exec, s[20:21]
	s_cbranch_execnz .LBB1_349
.LBB1_350:                              ;   in Loop: Header=BB1_282 Depth=1
	s_or_b64 exec, exec, s[18:19]
	global_load_dwordx2 v[0:1], v31, s[10:11] offset:16
	s_mov_b64 s[20:21], exec
	v_mbcnt_lo_u32_b32 v2, s20, 0
	v_mbcnt_hi_u32_b32 v2, s21, v2
	v_cmp_eq_u32_e32 vcc, 0, v2
	s_and_saveexec_b64 s[18:19], vcc
	s_cbranch_execz .LBB1_352
; %bb.351:                              ;   in Loop: Header=BB1_282 Depth=1
	s_bcnt1_i32_b64 s20, s[20:21]
	v_mov_b32_e32 v30, s20
	buffer_wbl2
	s_waitcnt vmcnt(0)
	global_atomic_add_x2 v[0:1], v[30:31], off offset:8
.LBB1_352:                              ;   in Loop: Header=BB1_282 Depth=1
	s_or_b64 exec, exec, s[18:19]
	s_waitcnt vmcnt(0)
	global_load_dwordx2 v[2:3], v[0:1], off offset:16
	s_waitcnt vmcnt(0)
	v_cmp_eq_u64_e32 vcc, 0, v[2:3]
	s_cbranch_vccnz .LBB1_354
; %bb.353:                              ;   in Loop: Header=BB1_282 Depth=1
	global_load_dword v30, v[0:1], off offset:24
	s_waitcnt vmcnt(0)
	v_and_b32_e32 v0, 0xffffff, v30
	v_readfirstlane_b32 m0, v0
	buffer_wbl2
	global_store_dwordx2 v[2:3], v[30:31], off
	s_sendmsg sendmsg(MSG_INTERRUPT)
.LBB1_354:                              ;   in Loop: Header=BB1_282 Depth=1
	s_or_b64 exec, exec, s[16:17]
	v_add_co_u32_e32 v0, vcc, v6, v36
	v_addc_co_u32_e32 v1, vcc, 0, v7, vcc
	s_branch .LBB1_358
.LBB1_355:                              ;   in Loop: Header=BB1_358 Depth=2
	s_or_b64 exec, exec, s[16:17]
	v_readfirstlane_b32 s16, v2
	s_cmp_eq_u32 s16, 0
	s_cbranch_scc1 .LBB1_357
; %bb.356:                              ;   in Loop: Header=BB1_358 Depth=2
	s_sleep 1
	s_cbranch_execnz .LBB1_358
	s_branch .LBB1_360
.LBB1_357:                              ;   in Loop: Header=BB1_282 Depth=1
	s_branch .LBB1_360
.LBB1_358:                              ;   Parent Loop BB1_282 Depth=1
                                        ; =>  This Inner Loop Header: Depth=2
	v_mov_b32_e32 v2, 1
	s_and_saveexec_b64 s[16:17], s[4:5]
	s_cbranch_execz .LBB1_355
; %bb.359:                              ;   in Loop: Header=BB1_358 Depth=2
	global_load_dword v2, v[34:35], off offset:20 glc
	s_waitcnt vmcnt(0)
	buffer_invl2
	buffer_wbinvl1_vol
	v_and_b32_e32 v2, 1, v2
	s_branch .LBB1_355
.LBB1_360:                              ;   in Loop: Header=BB1_282 Depth=1
	global_load_dwordx4 v[0:3], v[0:1], off
	s_and_saveexec_b64 s[16:17], s[4:5]
	s_cbranch_execz .LBB1_281
; %bb.361:                              ;   in Loop: Header=BB1_282 Depth=1
	global_load_dwordx2 v[2:3], v31, s[10:11] offset:40
	global_load_dwordx2 v[6:7], v31, s[10:11] offset:24 glc
	global_load_dwordx2 v[14:15], v31, s[10:11]
	v_mov_b32_e32 v11, s15
	s_waitcnt vmcnt(2)
	v_add_co_u32_e32 v13, vcc, 1, v2
	v_addc_co_u32_e32 v16, vcc, 0, v3, vcc
	v_add_co_u32_e32 v10, vcc, s14, v13
	v_addc_co_u32_e32 v11, vcc, v16, v11, vcc
	v_cmp_eq_u64_e32 vcc, 0, v[10:11]
	v_cndmask_b32_e32 v11, v11, v16, vcc
	v_cndmask_b32_e32 v10, v10, v13, vcc
	v_and_b32_e32 v3, v11, v3
	v_and_b32_e32 v2, v10, v2
	v_mul_lo_u32 v3, v3, 24
	v_mul_hi_u32 v13, v2, 24
	v_mul_lo_u32 v2, v2, 24
	v_add_u32_e32 v3, v13, v3
	s_waitcnt vmcnt(0)
	v_add_co_u32_e32 v2, vcc, v14, v2
	v_addc_co_u32_e32 v3, vcc, v15, v3, vcc
	v_mov_b32_e32 v12, v6
	global_store_dwordx2 v[2:3], v[6:7], off
	v_mov_b32_e32 v13, v7
	buffer_wbl2
	s_waitcnt vmcnt(0)
	global_atomic_cmpswap_x2 v[12:13], v31, v[10:13], s[10:11] offset:24 glc
	s_waitcnt vmcnt(0)
	v_cmp_ne_u64_e32 vcc, v[12:13], v[6:7]
	s_and_b64 exec, exec, vcc
	s_cbranch_execz .LBB1_281
; %bb.362:                              ;   in Loop: Header=BB1_282 Depth=1
	s_mov_b64 s[4:5], 0
.LBB1_363:                              ;   Parent Loop BB1_282 Depth=1
                                        ; =>  This Inner Loop Header: Depth=2
	s_sleep 1
	global_store_dwordx2 v[2:3], v[12:13], off
	buffer_wbl2
	s_waitcnt vmcnt(0)
	global_atomic_cmpswap_x2 v[6:7], v31, v[10:13], s[10:11] offset:24 glc
	s_waitcnt vmcnt(0)
	v_cmp_eq_u64_e32 vcc, v[6:7], v[12:13]
	s_or_b64 s[4:5], vcc, s[4:5]
	v_pk_mov_b32 v[12:13], v[6:7], v[6:7] op_sel:[0,1]
	s_andn2_b64 exec, exec, s[4:5]
	s_cbranch_execnz .LBB1_363
	s_branch .LBB1_281
.LBB1_364:
	s_or_b64 exec, exec, s[6:7]
                                        ; implicit-def: $vgpr36
                                        ; implicit-def: $vgpr37
.LBB1_365:
	s_andn2_saveexec_b64 s[6:7], s[12:13]
	s_cbranch_execz .LBB1_392
; %bb.366:
	v_readfirstlane_b32 s4, v37
	v_cmp_eq_u32_e64 s[4:5], s4, v37
	v_pk_mov_b32 v[8:9], 0, 0
	s_and_saveexec_b64 s[12:13], s[4:5]
	s_cbranch_execz .LBB1_372
; %bb.367:
	s_waitcnt vmcnt(0)
	v_mov_b32_e32 v2, 0
	global_load_dwordx2 v[6:7], v2, s[10:11] offset:24 glc
	s_waitcnt vmcnt(0)
	buffer_invl2
	buffer_wbinvl1_vol
	global_load_dwordx2 v[4:5], v2, s[10:11] offset:40
	global_load_dwordx2 v[8:9], v2, s[10:11]
	s_waitcnt vmcnt(1)
	v_and_b32_e32 v3, v4, v6
	v_and_b32_e32 v4, v5, v7
	v_mul_lo_u32 v4, v4, 24
	v_mul_hi_u32 v5, v3, 24
	v_mul_lo_u32 v3, v3, 24
	v_add_u32_e32 v5, v5, v4
	s_waitcnt vmcnt(0)
	v_add_co_u32_e32 v4, vcc, v8, v3
	v_addc_co_u32_e32 v5, vcc, v9, v5, vcc
	global_load_dwordx2 v[4:5], v[4:5], off glc
	s_waitcnt vmcnt(0)
	global_atomic_cmpswap_x2 v[8:9], v2, v[4:7], s[10:11] offset:24 glc
	s_waitcnt vmcnt(0)
	buffer_invl2
	buffer_wbinvl1_vol
	v_cmp_ne_u64_e32 vcc, v[8:9], v[6:7]
	s_and_saveexec_b64 s[14:15], vcc
	s_cbranch_execz .LBB1_371
; %bb.368:
	s_mov_b64 s[16:17], 0
.LBB1_369:                              ; =>This Inner Loop Header: Depth=1
	s_sleep 1
	global_load_dwordx2 v[4:5], v2, s[10:11] offset:40
	global_load_dwordx2 v[10:11], v2, s[10:11]
	v_pk_mov_b32 v[6:7], v[8:9], v[8:9] op_sel:[0,1]
	s_waitcnt vmcnt(1)
	v_and_b32_e32 v4, v4, v6
	v_and_b32_e32 v3, v5, v7
	s_waitcnt vmcnt(0)
	v_mad_u64_u32 v[4:5], s[18:19], v4, 24, v[10:11]
	v_mov_b32_e32 v8, v5
	v_mad_u64_u32 v[8:9], s[18:19], v3, 24, v[8:9]
	v_mov_b32_e32 v5, v8
	global_load_dwordx2 v[4:5], v[4:5], off glc
	s_waitcnt vmcnt(0)
	global_atomic_cmpswap_x2 v[8:9], v2, v[4:7], s[10:11] offset:24 glc
	s_waitcnt vmcnt(0)
	buffer_invl2
	buffer_wbinvl1_vol
	v_cmp_eq_u64_e32 vcc, v[8:9], v[6:7]
	s_or_b64 s[16:17], vcc, s[16:17]
	s_andn2_b64 exec, exec, s[16:17]
	s_cbranch_execnz .LBB1_369
; %bb.370:
	s_or_b64 exec, exec, s[16:17]
.LBB1_371:
	s_or_b64 exec, exec, s[14:15]
.LBB1_372:
	s_or_b64 exec, exec, s[12:13]
	s_waitcnt vmcnt(0)
	v_mov_b32_e32 v2, 0
	global_load_dwordx2 v[10:11], v2, s[10:11] offset:40
	global_load_dwordx4 v[4:7], v2, s[10:11]
	v_readfirstlane_b32 s12, v8
	v_readfirstlane_b32 s13, v9
	s_mov_b64 s[14:15], exec
	s_waitcnt vmcnt(1)
	v_readfirstlane_b32 s16, v10
	v_readfirstlane_b32 s17, v11
	s_and_b64 s[16:17], s[12:13], s[16:17]
	s_mul_i32 s18, s17, 24
	s_mul_hi_u32 s19, s16, 24
	s_mul_i32 s20, s16, 24
	s_add_i32 s18, s19, s18
	v_mov_b32_e32 v3, s18
	s_waitcnt vmcnt(0)
	v_add_co_u32_e32 v8, vcc, s20, v4
	v_addc_co_u32_e32 v9, vcc, v5, v3, vcc
	s_and_saveexec_b64 s[18:19], s[4:5]
	s_cbranch_execz .LBB1_374
; %bb.373:
	v_pk_mov_b32 v[10:11], s[14:15], s[14:15] op_sel:[0,1]
	v_mov_b32_e32 v12, 2
	v_mov_b32_e32 v13, 1
	global_store_dwordx4 v[8:9], v[10:13], off offset:8
.LBB1_374:
	s_or_b64 exec, exec, s[18:19]
	s_lshl_b64 s[14:15], s[16:17], 12
	v_mov_b32_e32 v3, s15
	v_add_co_u32_e32 v10, vcc, s14, v6
	v_addc_co_u32_e32 v11, vcc, v7, v3, vcc
	s_movk_i32 s14, 0xff1f
	s_mov_b32 s16, 0
	v_and_or_b32 v0, v0, s14, 32
	v_mov_b32_e32 v3, v2
	v_readfirstlane_b32 s14, v10
	v_readfirstlane_b32 s15, v11
	s_mov_b32 s17, s16
	v_add_co_u32_e32 v6, vcc, v10, v36
	s_mov_b32 s18, s16
	s_mov_b32 s19, s16
	s_nop 0
	global_store_dwordx4 v36, v[0:3], s[14:15]
	v_addc_co_u32_e32 v7, vcc, 0, v11, vcc
	v_pk_mov_b32 v[0:1], s[16:17], s[16:17] op_sel:[0,1]
	v_pk_mov_b32 v[2:3], s[18:19], s[18:19] op_sel:[0,1]
	global_store_dwordx4 v36, v[0:3], s[14:15] offset:16
	global_store_dwordx4 v36, v[0:3], s[14:15] offset:32
	;; [unrolled: 1-line block ×3, first 2 shown]
	s_and_saveexec_b64 s[14:15], s[4:5]
	s_cbranch_execz .LBB1_382
; %bb.375:
	v_mov_b32_e32 v10, 0
	global_load_dwordx2 v[14:15], v10, s[10:11] offset:32 glc
	global_load_dwordx2 v[0:1], v10, s[10:11] offset:40
	v_mov_b32_e32 v12, s12
	v_mov_b32_e32 v13, s13
	s_waitcnt vmcnt(0)
	v_readfirstlane_b32 s16, v0
	v_readfirstlane_b32 s17, v1
	s_and_b64 s[16:17], s[16:17], s[12:13]
	s_mul_i32 s17, s17, 24
	s_mul_hi_u32 s18, s16, 24
	s_mul_i32 s16, s16, 24
	s_add_i32 s17, s18, s17
	v_mov_b32_e32 v0, s17
	v_add_co_u32_e32 v4, vcc, s16, v4
	v_addc_co_u32_e32 v5, vcc, v5, v0, vcc
	global_store_dwordx2 v[4:5], v[14:15], off
	buffer_wbl2
	s_waitcnt vmcnt(0)
	global_atomic_cmpswap_x2 v[2:3], v10, v[12:15], s[10:11] offset:32 glc
	s_waitcnt vmcnt(0)
	v_cmp_ne_u64_e32 vcc, v[2:3], v[14:15]
	s_and_saveexec_b64 s[16:17], vcc
	s_cbranch_execz .LBB1_378
; %bb.376:
	s_mov_b64 s[18:19], 0
.LBB1_377:                              ; =>This Inner Loop Header: Depth=1
	s_sleep 1
	global_store_dwordx2 v[4:5], v[2:3], off
	v_mov_b32_e32 v0, s12
	v_mov_b32_e32 v1, s13
	buffer_wbl2
	s_waitcnt vmcnt(0)
	global_atomic_cmpswap_x2 v[0:1], v10, v[0:3], s[10:11] offset:32 glc
	s_waitcnt vmcnt(0)
	v_cmp_eq_u64_e32 vcc, v[0:1], v[2:3]
	s_or_b64 s[18:19], vcc, s[18:19]
	v_pk_mov_b32 v[2:3], v[0:1], v[0:1] op_sel:[0,1]
	s_andn2_b64 exec, exec, s[18:19]
	s_cbranch_execnz .LBB1_377
.LBB1_378:
	s_or_b64 exec, exec, s[16:17]
	v_mov_b32_e32 v3, 0
	global_load_dwordx2 v[0:1], v3, s[10:11] offset:16
	s_mov_b64 s[16:17], exec
	v_mbcnt_lo_u32_b32 v2, s16, 0
	v_mbcnt_hi_u32_b32 v2, s17, v2
	v_cmp_eq_u32_e32 vcc, 0, v2
	s_and_saveexec_b64 s[18:19], vcc
	s_cbranch_execz .LBB1_380
; %bb.379:
	s_bcnt1_i32_b64 s16, s[16:17]
	v_mov_b32_e32 v2, s16
	buffer_wbl2
	s_waitcnt vmcnt(0)
	global_atomic_add_x2 v[0:1], v[2:3], off offset:8
.LBB1_380:
	s_or_b64 exec, exec, s[18:19]
	s_waitcnt vmcnt(0)
	global_load_dwordx2 v[2:3], v[0:1], off offset:16
	s_waitcnt vmcnt(0)
	v_cmp_eq_u64_e32 vcc, 0, v[2:3]
	s_cbranch_vccnz .LBB1_382
; %bb.381:
	global_load_dword v0, v[0:1], off offset:24
	v_mov_b32_e32 v1, 0
	buffer_wbl2
	s_waitcnt vmcnt(0)
	global_store_dwordx2 v[2:3], v[0:1], off
	v_and_b32_e32 v0, 0xffffff, v0
	v_readfirstlane_b32 m0, v0
	s_sendmsg sendmsg(MSG_INTERRUPT)
.LBB1_382:
	s_or_b64 exec, exec, s[14:15]
	s_branch .LBB1_386
.LBB1_383:                              ;   in Loop: Header=BB1_386 Depth=1
	s_or_b64 exec, exec, s[14:15]
	v_readfirstlane_b32 s14, v0
	s_cmp_eq_u32 s14, 0
	s_cbranch_scc1 .LBB1_385
; %bb.384:                              ;   in Loop: Header=BB1_386 Depth=1
	s_sleep 1
	s_cbranch_execnz .LBB1_386
	s_branch .LBB1_388
.LBB1_385:
	s_branch .LBB1_388
.LBB1_386:                              ; =>This Inner Loop Header: Depth=1
	v_mov_b32_e32 v0, 1
	s_and_saveexec_b64 s[14:15], s[4:5]
	s_cbranch_execz .LBB1_383
; %bb.387:                              ;   in Loop: Header=BB1_386 Depth=1
	global_load_dword v0, v[8:9], off offset:20 glc
	s_waitcnt vmcnt(0)
	buffer_invl2
	buffer_wbinvl1_vol
	v_and_b32_e32 v0, 1, v0
	s_branch .LBB1_383
.LBB1_388:
	global_load_dwordx2 v[0:1], v[6:7], off
	s_and_saveexec_b64 s[14:15], s[4:5]
	s_cbranch_execz .LBB1_391
; %bb.389:
	v_mov_b32_e32 v8, 0
	global_load_dwordx2 v[6:7], v8, s[10:11] offset:40
	global_load_dwordx2 v[10:11], v8, s[10:11] offset:24 glc
	global_load_dwordx2 v[12:13], v8, s[10:11]
	v_mov_b32_e32 v3, s13
	s_mov_b64 s[4:5], 0
	s_waitcnt vmcnt(2)
	v_add_co_u32_e32 v5, vcc, 1, v6
	v_addc_co_u32_e32 v9, vcc, 0, v7, vcc
	v_add_co_u32_e32 v2, vcc, s12, v5
	v_addc_co_u32_e32 v3, vcc, v9, v3, vcc
	v_cmp_eq_u64_e32 vcc, 0, v[2:3]
	v_cndmask_b32_e32 v3, v3, v9, vcc
	v_cndmask_b32_e32 v2, v2, v5, vcc
	v_and_b32_e32 v5, v3, v7
	v_and_b32_e32 v6, v2, v6
	v_mul_lo_u32 v5, v5, 24
	v_mul_hi_u32 v7, v6, 24
	v_mul_lo_u32 v6, v6, 24
	v_add_u32_e32 v5, v7, v5
	s_waitcnt vmcnt(0)
	v_add_co_u32_e32 v6, vcc, v12, v6
	v_addc_co_u32_e32 v7, vcc, v13, v5, vcc
	v_mov_b32_e32 v4, v10
	global_store_dwordx2 v[6:7], v[10:11], off
	v_mov_b32_e32 v5, v11
	buffer_wbl2
	s_waitcnt vmcnt(0)
	global_atomic_cmpswap_x2 v[4:5], v8, v[2:5], s[10:11] offset:24 glc
	s_waitcnt vmcnt(0)
	v_cmp_ne_u64_e32 vcc, v[4:5], v[10:11]
	s_and_b64 exec, exec, vcc
	s_cbranch_execz .LBB1_391
.LBB1_390:                              ; =>This Inner Loop Header: Depth=1
	s_sleep 1
	global_store_dwordx2 v[6:7], v[4:5], off
	buffer_wbl2
	s_waitcnt vmcnt(0)
	global_atomic_cmpswap_x2 v[10:11], v8, v[2:5], s[10:11] offset:24 glc
	s_waitcnt vmcnt(0)
	v_cmp_eq_u64_e32 vcc, v[10:11], v[4:5]
	s_or_b64 s[4:5], vcc, s[4:5]
	v_pk_mov_b32 v[4:5], v[10:11], v[10:11] op_sel:[0,1]
	s_andn2_b64 exec, exec, s[4:5]
	s_cbranch_execnz .LBB1_390
.LBB1_391:
	s_or_b64 exec, exec, s[14:15]
.LBB1_392:
	s_or_b64 exec, exec, s[6:7]
	s_getpc_b64 s[4:5]
	s_add_u32 s4, s4, .str.1@rel32@lo+4
	s_addc_u32 s5, s5, .str.1@rel32@hi+12
	s_getpc_b64 s[6:7]
	s_add_u32 s6, s6, .str.1@rel32@lo+32
	s_addc_u32 s7, s7, .str.1@rel32@hi+40
	s_sub_i32 s10, s6, s4
	s_ashr_i32 s11, s10, 31
	s_waitcnt vmcnt(0)
	v_mov_b32_e32 v2, s4
	v_mov_b32_e32 v3, s5
	;; [unrolled: 1-line block ×5, first 2 shown]
	s_getpc_b64 s[6:7]
	s_add_u32 s6, s6, __ockl_fprintf_append_string_n@rel32@lo+4
	s_addc_u32 s7, s7, __ockl_fprintf_append_string_n@rel32@hi+12
	s_swappc_b64 s[30:31], s[6:7]
	s_trap 2
.Lfunc_end1:
	.size	__assert_fail, .Lfunc_end1-__assert_fail
                                        ; -- End function
	.section	.AMDGPU.csdata,"",@progbits
; Function info:
; codeLenInByte = 15360
; NumSgprs: 38
; NumVgprs: 41
; NumAgprs: 0
; TotalNumVgprs: 41
; ScratchSize: 64
; MemoryBound: 0
	.text
	.p2align	2                               ; -- Begin function _ZN12_GLOBAL__N_17runRingI6__half13FuncPreMulSumIS1_E11ProtoSimpleILi1ELi1ELi0ELi1ELi0ELi0EELi0ELi1ELi0EEEviiP15ncclDevWorkColl
	.type	_ZN12_GLOBAL__N_17runRingI6__half13FuncPreMulSumIS1_E11ProtoSimpleILi1ELi1ELi0ELi1ELi0ELi0EELi0ELi1ELi0EEEviiP15ncclDevWorkColl,@function
_ZN12_GLOBAL__N_17runRingI6__half13FuncPreMulSumIS1_E11ProtoSimpleILi1ELi1ELi0ELi1ELi0ELi0EELi0ELi1ELi0EEEviiP15ncclDevWorkColl: ; @_ZN12_GLOBAL__N_17runRingI6__half13FuncPreMulSumIS1_E11ProtoSimpleILi1ELi1ELi0ELi1ELi0ELi0EELi0ELi1ELi0EEEviiP15ncclDevWorkColl
; %bb.0:
	s_waitcnt vmcnt(0) expcnt(0) lgkmcnt(0)
	s_mov_b32 s4, s33
	s_mov_b32 s33, s32
	s_or_saveexec_b64 s[6:7], -1
	buffer_store_dword v63, off, s[0:3], s33 offset:40 ; 4-byte Folded Spill
	s_mov_b64 exec, s[6:7]
	v_writelane_b32 v63, s4, 35
	v_accvgpr_write_b32 a27, v40            ;  Reload Reuse
	s_addk_i32 s32, 0xc00
	v_accvgpr_write_b32 a28, v41            ;  Reload Reuse
	v_accvgpr_write_b32 a29, v42            ;  Reload Reuse
	v_accvgpr_write_b32 a30, v43            ;  Reload Reuse
	v_accvgpr_write_b32 a31, v44            ;  Reload Reuse
	buffer_store_dword v45, off, s[0:3], s33 offset:36 ; 4-byte Folded Spill
	buffer_store_dword v46, off, s[0:3], s33 offset:32 ; 4-byte Folded Spill
	;; [unrolled: 1-line block ×9, first 2 shown]
	buffer_store_dword v62, off, s[0:3], s33 ; 4-byte Folded Spill
	v_writelane_b32 v63, s34, 0
	v_writelane_b32 v63, s35, 1
	;; [unrolled: 1-line block ×35, first 2 shown]
	s_trap 2
	ds_read_b64 v[14:15], v0
	ds_read_b32 v6, v0
	flat_load_ushort v17, v[2:3] offset:8
	flat_load_dwordx2 v[8:9], v[2:3]
	v_mov_b32_e32 v62, v1
	v_mov_b32_e32 v32, v0
	s_waitcnt lgkmcnt(0)
	v_ashrrev_i32_e32 v5, 31, v15
	v_mov_b32_e32 v4, v15
	v_lshlrev_b64 v[4:5], 2, v[4:5]
	v_add_co_u32_e32 v4, vcc, v14, v4
	v_addc_co_u32_e32 v5, vcc, v15, v5, vcc
	v_add_co_u32_e32 v4, vcc, -4, v4
	v_addc_co_u32_e32 v5, vcc, -1, v5, vcc
	flat_load_dword v24, v[4:5]
                                        ; implicit-def: $vgpr18_vgpr19
                                        ; implicit-def: $vgpr4_vgpr5
                                        ; implicit-def: $vgpr50_vgpr51
	s_waitcnt vmcnt(0)
	v_mov_b32_e32 v16, v9
	v_cmp_ne_u32_sdwa s[4:5], v8, v6 src0_sel:BYTE_0 src1_sel:DWORD
	s_and_saveexec_b64 s[6:7], s[4:5]
	s_xor_b64 s[4:5], exec, s[6:7]
	s_cbranch_execz .LBB2_6
; %bb.1:
	v_not_b32_sdwa v9, v8 dst_sel:DWORD dst_unused:UNUSED_PAD src0_sel:BYTE_0
	v_cmp_ne_u32_sdwa s[6:7], v8, v6 src0_sel:BYTE_1 src1_sel:DWORD
                                        ; implicit-def: $vgpr18_vgpr19
                                        ; implicit-def: $vgpr4_vgpr5
                                        ; implicit-def: $vgpr50_vgpr51
	s_and_saveexec_b64 s[10:11], s[6:7]
	s_xor_b64 s[6:7], exec, s[10:11]
	s_cbranch_execz .LBB2_3
; %bb.2:
	flat_load_dwordx4 v[10:13], v[2:3] offset:72
	flat_load_dwordx2 v[4:5], v[2:3] offset:96
	v_add_u32_e32 v6, v6, v9
	v_ashrrev_i32_e32 v7, 31, v6
                                        ; implicit-def: $vgpr8
                                        ; implicit-def: $vgpr9
	s_waitcnt vmcnt(0) lgkmcnt(0)
	v_mul_lo_u32 v7, v12, v7
	v_mad_u64_u32 v[50:51], s[10:11], v12, v6, v[10:11]
	v_mul_lo_u32 v6, v13, v6
	v_lshrrev_b64 v[18:19], 13, v[4:5]
	v_add3_u32 v51, v6, v51, v7
	v_pk_mov_b32 v[4:5], v[12:13], v[12:13] op_sel:[0,1]
.LBB2_3:
	s_andn2_saveexec_b64 s[6:7], s[6:7]
	s_cbranch_execz .LBB2_5
; %bb.4:
	flat_load_dwordx4 v[10:13], v[2:3] offset:72
	flat_load_dwordx4 v[4:7], v[2:3] offset:88
	s_waitcnt vmcnt(0) lgkmcnt(0)
	v_add_u32_sdwa v6, v8, v9 dst_sel:DWORD dst_unused:UNUSED_PAD src0_sel:BYTE_1 src1_sel:DWORD
	v_ashrrev_i32_e32 v8, 31, v6
	v_mul_lo_u32 v8, v12, v8
	v_mad_u64_u32 v[50:51], s[10:11], v12, v6, v[10:11]
	v_mul_lo_u32 v6, v13, v6
	v_add3_u32 v51, v6, v51, v8
	v_lshrrev_b32_e32 v18, 2, v7
.LBB2_5:
	s_or_b64 exec, exec, s[6:7]
.LBB2_6:
	s_andn2_saveexec_b64 s[4:5], s[4:5]
	s_cbranch_execz .LBB2_8
; %bb.7:
	flat_load_dwordx2 v[6:7], v[2:3] offset:96
	flat_load_dwordx2 v[4:5], v[2:3] offset:72
	v_pk_mov_b32 v[50:51], 0, 0
	s_waitcnt vmcnt(0) lgkmcnt(0)
	v_lshlrev_b64 v[18:19], 8, v[6:7]
.LBB2_8:
	s_or_b64 exec, exec, s[4:5]
	s_trap 2
	ds_read_b64 v[6:7], v0
	s_waitcnt lgkmcnt(0)
	v_cmp_ne_u32_e32 vcc, -1, v6
	v_cndmask_b32_e64 v15, 0, 1, vcc
	v_cmp_ne_u32_e32 vcc, -1, v7
	v_addc_co_u32_e64 v6, s[4:5], 0, v15, vcc
	v_lshlrev_b32_e32 v7, 1, v6
	v_cmp_le_i32_e64 s[4:5], v7, v62
	s_and_saveexec_b64 s[6:7], s[4:5]
	s_xor_b64 s[24:25], exec, s[6:7]
	s_cbranch_execz .LBB2_602
; %bb.9:
	flat_load_dwordx4 v[10:13], v[2:3] offset:16
	flat_load_dwordx2 v[20:21], v[2:3] offset:104
	s_trap 2
	s_load_dword s4, s[8:9], 0x0
	v_mov_b32_e32 v2, 0
	s_waitcnt lgkmcnt(0)
	s_cmp_lt_u32 s12, s4
	s_cselect_b32 s4, 12, 18
	s_add_u32 s4, s8, s4
	s_addc_u32 s5, s9, 0
	global_load_ushort v25, v2, s[4:5]
	ds_read_b32 v2, v0
	v_cmp_ge_i32_e64 s[4:5], v32, v15
	s_waitcnt lgkmcnt(0)
	v_readfirstlane_b32 s12, v2
	v_mov_b32_e32 v2, 4
	s_and_saveexec_b64 s[6:7], s[4:5]
	s_cbranch_execz .LBB2_19
; %bb.10:
	v_cmp_le_u32_e64 s[4:5], v6, v32
                                        ; implicit-def: $vgpr2
	s_and_saveexec_b64 s[10:11], s[4:5]
	s_xor_b64 s[4:5], exec, s[10:11]
	s_cbranch_execz .LBB2_16
; %bb.11:
	v_cndmask_b32_e64 v2, 0, 1, vcc
	v_sub_u32_e32 v2, v62, v2
	v_cmp_ge_u32_e32 vcc, v32, v2
                                        ; implicit-def: $sgpr13
	s_and_saveexec_b64 s[10:11], vcc
	s_xor_b64 s[10:11], exec, s[10:11]
; %bb.12:
	s_mov_b32 s13, 16
                                        ; implicit-def: $vgpr6
; %bb.13:
	s_or_saveexec_b64 s[10:11], s[10:11]
	v_mov_b32_e32 v2, s13
	s_xor_b64 exec, exec, s[10:11]
; %bb.14:
	v_sub_u32_e32 v2, v62, v6
	v_cmp_ge_i32_e32 vcc, v32, v2
	v_cndmask_b32_e64 v2, 0, 1, vcc
	v_lshlrev_b32_e32 v2, 5, v2
; %bb.15:
	s_or_b64 exec, exec, s[10:11]
.LBB2_16:
	s_andn2_saveexec_b64 s[4:5], s[4:5]
; %bb.17:
	v_mov_b32_e32 v2, 8
; %bb.18:
	s_or_b64 exec, exec, s[4:5]
.LBB2_19:
	s_or_b64 exec, exec, s[6:7]
	v_and_b32_e32 v3, 36, v2
	v_cmp_ne_u32_e32 vcc, 0, v3
	v_mov_b32_e32 v22, -1
	s_and_saveexec_b64 s[4:5], vcc
	s_cbranch_execz .LBB2_21
; %bb.20:
	s_trap 2
	ds_read_b32 v22, v0
.LBB2_21:
	s_or_b64 exec, exec, s[4:5]
	v_and_b32_e32 v3, 24, v2
	v_cmp_ne_u32_e64 s[4:5], 0, v3
	s_and_saveexec_b64 s[6:7], s[4:5]
	s_cbranch_execz .LBB2_23
; %bb.22:
	s_trap 2
	s_waitcnt lgkmcnt(0)
	ds_read_b32 v22, v0
.LBB2_23:
	s_or_b64 exec, exec, s[6:7]
	v_lshrrev_b64 v[6:7], 31, v[16:17]
	v_pk_mov_b32 v[26:27], 0, 0
	v_and_b32_e32 v3, 3, v6
	s_waitcnt lgkmcnt(0)
	v_ashrrev_i32_e32 v23, 31, v22
	v_pk_mov_b32 v[6:7], v[26:27], v[26:27] op_sel:[0,1]
                                        ; implicit-def: $agpr4_agpr5
                                        ; implicit-def: $vgpr56
                                        ; implicit-def: $vgpr34_vgpr35
                                        ; implicit-def: $vgpr58_vgpr59
                                        ; implicit-def: $vgpr28_vgpr29
	s_and_saveexec_b64 s[4:5], vcc
	s_cbranch_execz .LBB2_33
; %bb.24:
	s_trap 2
	ds_read_b64 v[6:7], v0
	v_lshlrev_b64 v[8:9], 3, v[22:23]
	s_movk_i32 s6, 0xa8
                                        ; implicit-def: $agpr4_agpr5
	s_waitcnt lgkmcnt(0)
	v_add_co_u32_e32 v6, vcc, v6, v8
	v_addc_co_u32_e32 v7, vcc, v7, v9, vcc
	flat_load_dwordx2 v[6:7], v[6:7]
	v_and_b32_e32 v8, 0xffff, v3
	s_waitcnt vmcnt(0) lgkmcnt(0)
	v_mad_u64_u32 v[6:7], s[6:7], v8, s6, v[6:7]
	flat_load_dword v8, v[6:7] offset:640
	v_add_co_u32_e32 v26, vcc, 0x1f8, v6
	v_addc_co_u32_e32 v27, vcc, 0, v7, vcc
	s_waitcnt vmcnt(0) lgkmcnt(0)
	v_cmp_eq_u32_e32 vcc, 1, v8
	s_and_saveexec_b64 s[6:7], vcc
	s_cbranch_execz .LBB2_26
; %bb.25:
	flat_load_dwordx2 v[0:1], v[26:27] offset:144
	v_or_b32_e32 v2, 0x2000, v2
	s_waitcnt vmcnt(0) lgkmcnt(0)
	flat_load_dwordx2 v[6:7], v[0:1]
	s_trap 2
	v_accvgpr_write_b32 a5, v1
	v_accvgpr_write_b32 a4, v0
	s_waitcnt vmcnt(0) lgkmcnt(0)
	ds_write_b64 v0, v[6:7]
	flat_load_dwordx2 v[6:7], v[0:1] offset:8
	s_waitcnt vmcnt(0) lgkmcnt(0)
	ds_write_b64 v0, v[6:7]
	flat_load_dwordx2 v[6:7], v[0:1] offset:16
	s_waitcnt vmcnt(0) lgkmcnt(0)
	ds_write_b64 v0, v[6:7]
.LBB2_26:
	s_or_b64 exec, exec, s[6:7]
	flat_load_dwordx2 v[8:9], v[26:27] offset:104
	v_and_b32_e32 v6, 32, v2
	v_cmp_ne_u32_e32 vcc, 0, v6
                                        ; implicit-def: $vgpr28_vgpr29
	s_and_saveexec_b64 s[6:7], vcc
	s_cbranch_execz .LBB2_28
; %bb.27:
	flat_load_dwordx2 v[28:29], v[26:27] offset:56
	s_waitcnt vmcnt(0) lgkmcnt(0)
	flat_store_dwordx2 v[28:29], v[8:9]
.LBB2_28:
	s_or_b64 exec, exec, s[6:7]
	v_and_b32_e32 v6, 4, v2
	v_cmp_ne_u32_e32 vcc, 0, v6
	v_pk_mov_b32 v[6:7], 0, 0
                                        ; implicit-def: $vgpr56
                                        ; implicit-def: $vgpr34_vgpr35
                                        ; implicit-def: $vgpr58_vgpr59
	s_and_saveexec_b64 s[6:7], vcc
	s_cbranch_execz .LBB2_32
; %bb.29:
	v_and_b32_e32 v6, 0x800, v2
	v_cmp_eq_u32_e32 vcc, 0, v6
	s_and_saveexec_b64 s[10:11], vcc
	s_cbranch_execz .LBB2_31
; %bb.30:
	s_trap 2
	ds_write_b64 v0, v[26:27]
.LBB2_31:
	s_or_b64 exec, exec, s[10:11]
	flat_load_dwordx2 v[28:29], v[26:27] offset:48
	v_or_b32_e32 v19, 0x100, v2
	s_waitcnt vmcnt(0) lgkmcnt(0)
	flat_load_dwordx2 v[34:35], v[28:29] glc
	flat_load_dword v17, v[26:27] offset:72
	flat_load_dwordx2 v[6:7], v[26:27] offset:96
	flat_load_dwordx2 v[58:59], v[26:27] offset:16
	s_waitcnt vmcnt(0) lgkmcnt(0)
	v_ashrrev_i32_e32 v56, 1, v17
	v_cmp_eq_u64_e32 vcc, 0, v[6:7]
	v_cndmask_b32_e32 v2, v19, v2, vcc
.LBB2_32:
	s_or_b64 exec, exec, s[6:7]
.LBB2_33:
	s_or_b64 exec, exec, s[4:5]
	v_and_b32_e32 v17, 24, v2
	v_cmp_ne_u32_e32 vcc, 0, v17
                                        ; implicit-def: $vgpr60_vgpr61
	s_and_saveexec_b64 s[4:5], vcc
	s_cbranch_execz .LBB2_41
; %bb.34:
	s_trap 2
	ds_read_b64 v[6:7], v0
	s_waitcnt vmcnt(0) lgkmcnt(0)
	v_lshlrev_b64 v[8:9], 3, v[22:23]
	v_and_b32_e32 v3, 0xffff, v3
	s_movk_i32 s6, 0xa8
                                        ; implicit-def: $vgpr60_vgpr61
	v_add_co_u32_e32 v6, vcc, v6, v8
	v_addc_co_u32_e32 v7, vcc, v7, v9, vcc
	flat_load_dwordx2 v[6:7], v[6:7]
	s_waitcnt vmcnt(0) lgkmcnt(0)
	v_mad_u64_u32 v[26:27], s[6:7], v3, s6, v[6:7]
	flat_load_dwordx4 v[6:9], v[26:27] offset:96
	v_or_b32_e32 v3, 0x100, v2
	s_waitcnt vmcnt(0) lgkmcnt(0)
	v_cmp_eq_u64_e32 vcc, 0, v[6:7]
	v_cndmask_b32_e32 v2, v3, v2, vcc
	v_and_b32_e32 v3, 16, v2
	v_cmp_ne_u32_e32 vcc, 0, v3
	s_and_saveexec_b64 s[6:7], vcc
	s_cbranch_execz .LBB2_36
; %bb.35:
	flat_load_dwordx2 v[60:61], v[26:27] offset:120
	flat_load_dwordx2 v[28:29], v[26:27] offset:48
	;; [unrolled: 1-line block ×3, first 2 shown]
.LBB2_36:
	s_or_b64 exec, exec, s[6:7]
	v_and_b32_e32 v3, 8, v2
	v_cmp_ne_u32_e32 vcc, 0, v3
	s_and_saveexec_b64 s[6:7], vcc
	s_cbranch_execz .LBB2_40
; %bb.37:
	v_and_b32_e32 v3, 0x800, v2
	v_cmp_eq_u32_e32 vcc, 0, v3
	s_and_saveexec_b64 s[10:11], vcc
	s_cbranch_execz .LBB2_39
; %bb.38:
	s_trap 2
	ds_write_b64 v0, v[26:27]
.LBB2_39:
	s_or_b64 exec, exec, s[10:11]
	s_waitcnt vmcnt(0) lgkmcnt(0)
	flat_load_dwordx2 v[28:29], v[26:27] offset:56
	s_waitcnt vmcnt(0) lgkmcnt(0)
	flat_load_dwordx2 v[34:35], v[28:29] glc
	flat_load_dword v3, v[26:27] offset:72
	flat_load_dwordx2 v[58:59], v[26:27] offset:16
	s_waitcnt vmcnt(0) lgkmcnt(0)
	v_ashrrev_i32_e32 v56, 1, v3
.LBB2_40:
	s_or_b64 exec, exec, s[6:7]
.LBB2_41:
	s_or_b64 exec, exec, s[4:5]
	v_cmp_eq_u32_e64 s[4:5], 0, v32
	s_and_saveexec_b64 s[6:7], s[4:5]
	s_cbranch_execz .LBB2_43
; %bb.42:
	s_waitcnt vmcnt(0)
	ds_write2_b64 v0, v[12:13], v[10:11] offset1:1
	v_mov_b32_e32 v10, 0
	v_mov_b32_e32 v11, v10
	s_trap 2
	ds_write_b64 v0, v[10:11]
	ds_write_b64 v0, v[20:21]
.LBB2_43:
	s_or_b64 exec, exec, s[6:7]
	s_ashr_i32 s6, s12, 31
	s_lshr_b32 s6, s6, 29
	s_add_i32 s12, s12, s6
	v_bfe_u32 v3, v16, 1, 30
	v_and_b32_e32 v38, 0x1fffff00, v18
	v_mov_b32_e32 v39, 0
	s_ashr_i32 s62, s12, 4
	v_cmp_ne_u32_e32 vcc, v24, v3
                                        ; implicit-def: $vgpr36_vgpr37
	s_and_saveexec_b64 s[6:7], vcc
	s_xor_b64 s[26:27], exec, s[6:7]
	s_cbranch_execz .LBB2_395
; %bb.44:
	v_cmp_ne_u32_e32 vcc, v14, v3
	v_cmp_ne_u64_e64 s[6:7], 0, v[4:5]
                                        ; implicit-def: $vgpr36_vgpr37
	s_and_saveexec_b64 s[10:11], vcc
	s_xor_b64 s[28:29], exec, s[10:11]
	s_cbranch_execz .LBB2_225
; %bb.45:
	v_pk_mov_b32 v[36:37], 0, 0
	s_and_saveexec_b64 s[30:31], s[6:7]
	s_cbranch_execz .LBB2_224
; %bb.46:
	v_and_b32_e32 v3, 63, v31
	v_cmp_eq_u32_e64 s[14:15], 0, v3
	v_ashrrev_i32_e32 v3, 31, v32
	v_lshrrev_b32_e32 v3, 26, v3
	v_add_u32_e32 v3, v32, v3
	s_waitcnt vmcnt(0)
	v_and_b32_e32 v10, 0xffffffc0, v3
	v_ashrrev_i32_e32 v46, 6, v3
	v_sub_u32_e32 v0, v32, v10
	v_lshlrev_b32_e32 v3, 11, v46
	v_lshrrev_b32_e32 v52, 6, v62
	v_cmp_le_i32_e64 s[16:17], v0, v15
	v_cmp_lt_i32_e64 s[18:19], v0, v15
	v_accvgpr_write_b32 a15, v0
	v_lshl_add_u32 v0, v0, 4, v3
	v_mov_b32_e32 v3, 0xfffff800
	v_lshl_add_u32 v3, v52, 11, v3
	s_movk_i32 s20, 0x800
	v_ashrrev_i32_e32 v10, 31, v3
	v_add_co_u32_e64 v41, s[20:21], s20, v3
	v_addc_co_u32_e64 v40, s[20:21], 0, v10, s[20:21]
	v_lshlrev_b32_e32 v33, 10, v52
	v_add_u32_e32 v3, 0xfffffc00, v33
	s_movk_i32 s20, 0x400
	v_ashrrev_i32_e32 v10, 31, v3
	v_add_co_u32_e64 v49, s[20:21], s20, v3
	s_lshr_b32 s10, s62, 27
	v_accvgpr_write_b32 a18, v0
	v_ashrrev_i32_e32 v1, 31, v0
	v_addc_co_u32_e64 v0, s[20:21], 0, v10, s[20:21]
	v_mov_b32_e32 v10, 0xffffff00
	s_add_i32 s10, s62, s10
	v_lshl_add_u32 v10, v52, 8, v10
	s_movk_i32 s20, 0x100
	s_ashr_i32 s63, s10, 5
	v_cmp_ge_i32_e64 s[10:11], v32, v62
	v_cmp_eq_u32_e32 vcc, 64, v62
	v_cmp_ne_u32_e64 s[12:13], 64, v62
	v_cmp_ne_u32_sdwa s[34:35], v25, v62 src0_sel:WORD_0 src1_sel:DWORD
	v_accvgpr_write_b32 a0, v62
	v_ashrrev_i32_e32 v11, 31, v10
	v_add_co_u32_e64 v62, s[20:21], s20, v10
	v_accvgpr_write_b32 a1, v31
	v_addc_co_u32_e64 v31, s[20:21], 0, v11, s[20:21]
	v_lshlrev_b32_e32 v53, 7, v52
	v_accvgpr_write_b32 a6, v26
	v_add_u32_e32 v10, 0xffffff80, v53
	s_movk_i32 s20, 0x80
	v_accvgpr_write_b32 a7, v27
	v_ashrrev_i32_e32 v11, 31, v10
	v_add_co_u32_e64 v30, s[20:21], s20, v10
	v_lshlrev_b64 v[26:27], 1, v[50:51]
	v_addc_co_u32_e64 v48, s[20:21], 0, v11, s[20:21]
	v_pk_mov_b32 v[42:43], 0, 0
	v_accvgpr_write_b32 a24, v26
	v_ashrrev_i32_e32 v47, 31, v56
	v_accvgpr_write_b32 a2, v25
	v_mov_b32_e32 v24, 0
	v_accvgpr_write_b32 a17, v1
	s_mov_b64 s[36:37], 0
	s_waitcnt lgkmcnt(0)
	v_cmp_eq_u64_e64 s[20:21], 0, v[60:61]
	s_movk_i32 s64, 0x270e
	s_movk_i32 s65, 0x108
	v_mov_b32_e32 v54, 1
	s_xor_b64 s[38:39], vcc, -1
	v_mov_b32_e32 v51, v0
	v_pk_mov_b32 v[36:37], v[42:43], v[42:43] op_sel:[0,1]
	v_accvgpr_write_b32 a19, v33
	v_accvgpr_write_b32 a20, v49
	;; [unrolled: 1-line block ×5, first 2 shown]
	s_trap 2
	s_branch .LBB2_49
.LBB2_47:                               ;   in Loop: Header=BB2_49 Depth=1
	s_or_b64 exec, exec, s[22:23]
.LBB2_48:                               ;   in Loop: Header=BB2_49 Depth=1
	s_or_b64 exec, exec, s[42:43]
	v_add_co_u32_e32 v42, vcc, v42, v38
	v_addc_co_u32_e32 v43, vcc, 0, v43, vcc
	v_cmp_ge_u64_e32 vcc, v[42:43], v[4:5]
	s_or_b64 s[36:37], vcc, s[36:37]
	s_andn2_b64 exec, exec, s[36:37]
	s_cbranch_execz .LBB2_223
.LBB2_49:                               ; =>This Loop Header: Depth=1
                                        ;     Child Loop BB2_58 Depth 2
                                        ;     Child Loop BB2_86 Depth 2
	;; [unrolled: 1-line block ×10, first 2 shown]
	v_sub_co_u32_e32 v10, vcc, v4, v42
	v_subb_co_u32_e32 v11, vcc, v5, v43, vcc
	v_cmp_lt_u64_e32 vcc, v[38:39], v[10:11]
	v_cndmask_b32_e64 v45, v11, 0, vcc
	v_cndmask_b32_e32 v44, v10, v38, vcc
	v_add_u32_e32 v0, 15, v44
	v_cmp_eq_u64_e32 vcc, 0, v[44:45]
	v_and_b32_e32 v0, 0x3ffffff0, v0
	s_or_b64 s[40:41], s[10:11], vcc
	v_max_i32_e32 v50, s63, v0
	s_xor_b64 s[22:23], s[40:41], -1
	v_mov_b32_e32 v11, 0
	s_and_saveexec_b64 s[42:43], s[22:23]
	s_cbranch_execz .LBB2_171
; %bb.50:                               ;   in Loop: Header=BB2_49 Depth=1
	s_and_saveexec_b64 s[22:23], s[4:5]
	s_cbranch_execz .LBB2_52
; %bb.51:                               ;   in Loop: Header=BB2_49 Depth=1
	s_trap 2
	ds_read_b64 v[10:11], v0
	v_mov_b32_e32 v25, v24
	s_waitcnt lgkmcnt(0)
	v_add_co_u32_e32 v0, vcc, v10, v26
	v_addc_co_u32_e32 v1, vcc, v11, v27, vcc
	v_lshlrev_b64 v[10:11], 1, v[42:43]
	v_add_co_u32_e32 v10, vcc, v0, v10
	v_addc_co_u32_e32 v11, vcc, v1, v11, vcc
	ds_write_b64 v0, v[10:11]
	ds_write_b64 v0, v[24:25]
.LBB2_52:                               ;   in Loop: Header=BB2_49 Depth=1
	s_or_b64 exec, exec, s[22:23]
	v_and_b32_e32 v0, 12, v2
	v_cmp_ne_u32_e32 vcc, 0, v0
	s_mov_b64 s[44:45], -1
	s_and_saveexec_b64 s[22:23], vcc
	s_cbranch_execz .LBB2_64
; %bb.53:                               ;   in Loop: Header=BB2_49 Depth=1
	v_and_b32_e32 v10, 8, v2
	v_add_co_u32_e32 v14, vcc, v34, v10
	v_addc_co_u32_e32 v15, vcc, 0, v35, vcc
	v_add_co_u32_e32 v12, vcc, 1, v8
	v_addc_co_u32_e32 v13, vcc, 0, v9, vcc
	v_cmp_lt_u64_e32 vcc, v[14:15], v[12:13]
	v_mov_b32_e32 v11, 1
	s_and_saveexec_b64 s[44:45], vcc
	s_cbranch_execz .LBB2_63
; %bb.54:                               ;   in Loop: Header=BB2_49 Depth=1
	s_mov_b64 s[46:47], 0
	v_mov_b32_e32 v11, 0
                                        ; implicit-def: $sgpr48_sgpr49
	s_branch .LBB2_58
.LBB2_55:                               ;   in Loop: Header=BB2_58 Depth=2
	s_or_b64 exec, exec, s[56:57]
	v_mov_b32_e32 v14, 0
	s_orn2_b64 s[54:55], s[54:55], exec
.LBB2_56:                               ;   in Loop: Header=BB2_58 Depth=2
	s_or_b64 exec, exec, s[52:53]
	s_andn2_b64 vcc, s[48:49], exec
	s_and_b64 s[48:49], s[54:55], exec
	s_or_b64 s[48:49], vcc, s[48:49]
	v_mov_b32_e32 v11, v14
.LBB2_57:                               ;   in Loop: Header=BB2_58 Depth=2
	s_or_b64 exec, exec, s[50:51]
	s_waitcnt vmcnt(0) lgkmcnt(0)
	v_add_co_u32_e32 v14, vcc, v34, v10
	v_addc_co_u32_e32 v15, vcc, 0, v35, vcc
	v_cmp_ge_u64_e32 vcc, v[14:15], v[12:13]
	s_xor_b64 s[50:51], s[48:49], -1
	s_or_b64 vcc, s[50:51], vcc
	s_and_b64 vcc, exec, vcc
	s_or_b64 s[46:47], vcc, s[46:47]
	s_andn2_b64 exec, exec, s[46:47]
	s_cbranch_execz .LBB2_62
.LBB2_58:                               ;   Parent Loop BB2_49 Depth=1
                                        ; =>  This Inner Loop Header: Depth=2
	s_sleep 1
	flat_load_dwordx2 v[34:35], v[28:29] glc
	v_and_b32_e32 v0, 64, v2
	v_cmp_eq_u32_e32 vcc, 0, v0
	s_andn2_b64 s[48:49], s[48:49], exec
	s_and_saveexec_b64 s[50:51], vcc
	s_cbranch_execz .LBB2_57
; %bb.59:                               ;   in Loop: Header=BB2_58 Depth=2
	v_add_u32_e32 v14, 1, v11
	v_cmp_lt_i32_e32 vcc, s64, v11
	s_mov_b64 s[54:55], -1
	s_and_saveexec_b64 s[52:53], vcc
	s_cbranch_execz .LBB2_56
; %bb.60:                               ;   in Loop: Header=BB2_58 Depth=2
	s_trap 2
	ds_read_b64 v[14:15], v0
	s_waitcnt vmcnt(0) lgkmcnt(0)
	flat_load_dword v11, v[14:15] glc
	s_waitcnt vmcnt(0) lgkmcnt(0)
	buffer_invl2
	buffer_wbinvl1_vol
	v_cmp_ne_u32_e32 vcc, 0, v11
	s_and_saveexec_b64 s[56:57], vcc
	s_cbranch_execz .LBB2_55
; %bb.61:                               ;   in Loop: Header=BB2_58 Depth=2
	v_or_b32_e32 v2, 64, v2
	s_xor_b64 s[54:55], exec, -1
	ds_write_b32 v0, v11
	s_trap 2
	s_branch .LBB2_55
.LBB2_62:                               ;   in Loop: Header=BB2_49 Depth=1
	s_or_b64 exec, exec, s[46:47]
	v_and_b32_e32 v11, 12, v2
.LBB2_63:                               ;   in Loop: Header=BB2_49 Depth=1
	s_or_b64 exec, exec, s[44:45]
	v_cmp_eq_u32_e32 vcc, 0, v11
	s_orn2_b64 s[44:45], vcc, exec
	;;#ASMSTART
	s_wakeup
	;;#ASMEND
.LBB2_64:                               ;   in Loop: Header=BB2_49 Depth=1
	s_or_b64 exec, exec, s[22:23]
	s_xor_b64 s[22:23], s[44:45], -1
	v_min_u32_e32 v50, v50, v44
	s_and_saveexec_b64 s[44:45], s[22:23]
	s_cbranch_execz .LBB2_78
; %bb.65:                               ;   in Loop: Header=BB2_49 Depth=1
	v_and_b32_e32 v0, 0x108, v2
	v_cmp_ne_u32_e32 vcc, s65, v0
	v_and_b32_e32 v10, 7, v8
	s_and_saveexec_b64 s[22:23], vcc
	s_xor_b64 s[22:23], exec, s[22:23]
                                        ; implicit-def: $vgpr12_vgpr13
; %bb.66:                               ;   in Loop: Header=BB2_49 Depth=1
	v_mov_b32_e32 v13, v24
; %bb.67:                               ;   in Loop: Header=BB2_49 Depth=1
	s_andn2_saveexec_b64 s[22:23], s[22:23]
	s_cbranch_execz .LBB2_69
; %bb.68:                               ;   in Loop: Header=BB2_49 Depth=1
	v_mov_b32_e32 v13, v24
	v_mad_u64_u32 v[14:15], vcc, v10, 24, v[6:7]
	v_lshlrev_b32_e32 v16, 1, v50
	v_mov_b32_e32 v17, v24
	flat_store_dwordx2 v[14:15], v[16:17] offset:8
.LBB2_69:                               ;   in Loop: Header=BB2_49 Depth=1
	s_or_b64 exec, exec, s[22:23]
	v_and_b32_e32 v0, 0x100, v2
	v_cmp_ne_u32_e32 vcc, 0, v0
	s_mov_b64 s[22:23], -1
                                        ; implicit-def: $vgpr14_vgpr15
	s_and_saveexec_b64 s[46:47], vcc
	s_cbranch_execz .LBB2_73
; %bb.70:                               ;   in Loop: Header=BB2_49 Depth=1
	v_mad_u64_u32 v[16:17], s[22:23], v10, 24, v[6:7]
	v_mov_b32_e32 v12, v17
	v_mad_u64_u32 v[14:15], s[22:23], v13, 24, v[12:13]
	v_mov_b32_e32 v17, v14
	flat_load_dword v0, v[16:17]
                                        ; implicit-def: $vgpr14_vgpr15
	s_waitcnt vmcnt(0) lgkmcnt(0)
	v_cmp_ne_u32_e32 vcc, 1, v0
	v_cmp_eq_u32_e64 s[22:23], 1, v0
	s_and_saveexec_b64 s[48:49], s[22:23]
	s_cbranch_execz .LBB2_72
; %bb.71:                               ;   in Loop: Header=BB2_49 Depth=1
	flat_load_dword v14, v[16:17] offset:4 glc
	s_waitcnt vmcnt(0) lgkmcnt(0)
	v_ashrrev_i32_e32 v15, 31, v14
	v_lshrrev_b64 v[14:15], 1, v[14:15]
.LBB2_72:                               ;   in Loop: Header=BB2_49 Depth=1
	s_or_b64 exec, exec, s[48:49]
	s_orn2_b64 s[22:23], vcc, exec
.LBB2_73:                               ;   in Loop: Header=BB2_49 Depth=1
	s_or_b64 exec, exec, s[46:47]
	s_and_saveexec_b64 vcc, s[22:23]
; %bb.74:                               ;   in Loop: Header=BB2_49 Depth=1
	v_mul_lo_u32 v0, v13, v56
	v_mul_lo_u32 v1, v10, v47
	v_mad_u64_u32 v[14:15], s[22:23], v10, v56, 0
	v_add3_u32 v15, v15, v1, v0
; %bb.75:                               ;   in Loop: Header=BB2_49 Depth=1
	s_or_b64 exec, exec, vcc
	v_lshlrev_b64 v[10:11], 1, v[14:15]
	v_add_co_u32_e32 v10, vcc, v58, v10
	v_addc_co_u32_e32 v11, vcc, v59, v11, vcc
	s_trap 2
	ds_write_b64 v0, v[10:11]
	v_and_b32_e32 v0, 0x2000, v2
	v_cmp_ne_u32_e32 vcc, 0, v0
	s_and_saveexec_b64 s[22:23], vcc
	s_cbranch_execz .LBB2_77
; %bb.76:                               ;   in Loop: Header=BB2_49 Depth=1
	ds_read_b64 v[10:11], v0 offset:584
	s_waitcnt lgkmcnt(0)
	v_add_co_u32_e32 v10, vcc, 1, v10
	v_addc_co_u32_e32 v11, vcc, 0, v11, vcc
	ds_write_b64 v0, v[10:11] offset:584
.LBB2_77:                               ;   in Loop: Header=BB2_49 Depth=1
	s_or_b64 exec, exec, s[22:23]
	v_add_co_u32_e32 v8, vcc, 1, v8
	v_addc_co_u32_e32 v9, vcc, 0, v9, vcc
.LBB2_78:                               ;   in Loop: Header=BB2_49 Depth=1
	s_or_b64 exec, exec, s[44:45]
	s_and_saveexec_b64 s[22:23], s[12:13]
	s_cbranch_execz .LBB2_97
; %bb.79:                               ;   in Loop: Header=BB2_49 Depth=1
	s_and_saveexec_b64 vcc, s[34:35]
	s_xor_b64 s[44:45], exec, vcc
	s_cbranch_execz .LBB2_94
; %bb.80:                               ;   in Loop: Header=BB2_49 Depth=1
	s_and_saveexec_b64 s[46:47], s[14:15]
	s_cbranch_execz .LBB2_93
; %bb.81:                               ;   in Loop: Header=BB2_49 Depth=1
	s_mov_b64 s[50:51], exec
	v_mbcnt_lo_u32_b32 v0, s50, 0
	v_mbcnt_hi_u32_b32 v0, s51, v0
	v_cmp_eq_u32_e32 vcc, 0, v0
	s_waitcnt vmcnt(0) lgkmcnt(0)
	buffer_wbinvl1_vol
	s_and_saveexec_b64 s[48:49], vcc
	s_cbranch_execz .LBB2_83
; %bb.82:                               ;   in Loop: Header=BB2_49 Depth=1
	s_bcnt1_i32_b64 vcc_lo, s[50:51]
	v_mov_b32_e32 v10, vcc_lo
	v_mov_b32_e32 v11, v24
	ds_add_u64 v0, v[10:11]
	s_trap 2
.LBB2_83:                               ;   in Loop: Header=BB2_49 Depth=1
	s_or_b64 exec, exec, s[48:49]
	s_trap 2
	ds_read_b64 v[10:11], v0
	v_add_co_u32_e32 v36, vcc, v36, v52
	v_addc_co_u32_e32 v37, vcc, 0, v37, vcc
	s_waitcnt lgkmcnt(0)
	v_cmp_lt_u64_e32 vcc, v[10:11], v[36:37]
	s_and_saveexec_b64 s[48:49], vcc
	s_cbranch_execz .LBB2_92
; %bb.84:                               ;   in Loop: Header=BB2_49 Depth=1
	s_mov_b32 s60, 0
	s_mov_b64 s[50:51], 0
                                        ; implicit-def: $sgpr52_sgpr53
                                        ; implicit-def: $sgpr54_sgpr55
	s_branch .LBB2_86
.LBB2_85:                               ;   in Loop: Header=BB2_86 Depth=2
	s_or_b64 exec, exec, s[58:59]
	s_and_b64 vcc, exec, vcc
	s_or_b64 s[50:51], vcc, s[50:51]
	s_andn2_b64 vcc, s[52:53], exec
	s_and_b64 s[52:53], s[54:55], exec
	s_or_b64 s[52:53], vcc, s[52:53]
	s_andn2_b64 exec, exec, s[50:51]
	s_cbranch_execz .LBB2_90
.LBB2_86:                               ;   Parent Loop BB2_49 Depth=1
                                        ; =>  This Inner Loop Header: Depth=2
	s_add_i32 s60, s60, 1
	s_cmpk_lg_i32 s60, 0x2710
	s_cselect_b64 s[56:57], -1, 0
	s_and_b64 vcc, exec, s[56:57]
                                        ; implicit-def: $sgpr58_sgpr59
	s_cbranch_vccnz .LBB2_88
; %bb.87:                               ;   in Loop: Header=BB2_86 Depth=2
	s_trap 2
	ds_read_b64 v[10:11], v0
	s_andn2_b64 s[56:57], s[56:57], exec
	s_mov_b32 s60, 0
	s_mov_b64 s[58:59], -1
	s_waitcnt lgkmcnt(0)
	flat_load_dword v0, v[10:11] glc
	s_waitcnt vmcnt(0) lgkmcnt(0)
	buffer_invl2
	buffer_wbinvl1_vol
	v_cmp_eq_u32_e32 vcc, 0, v0
	s_and_b64 vcc, vcc, exec
	s_or_b64 s[56:57], s[56:57], vcc
.LBB2_88:                               ;   in Loop: Header=BB2_86 Depth=2
	s_andn2_b64 s[54:55], s[54:55], exec
	s_and_b64 s[58:59], s[58:59], exec
	s_mov_b64 vcc, -1
	s_or_b64 s[54:55], s[54:55], s[58:59]
	s_and_saveexec_b64 s[58:59], s[56:57]
	s_cbranch_execz .LBB2_85
; %bb.89:                               ;   in Loop: Header=BB2_86 Depth=2
	s_sleep 1
	s_trap 2
	ds_read_b64 v[10:11], v0
	s_andn2_b64 s[54:55], s[54:55], exec
	s_waitcnt lgkmcnt(0)
	v_cmp_ge_u64_e32 vcc, v[10:11], v[36:37]
	s_orn2_b64 vcc, vcc, exec
	s_branch .LBB2_85
.LBB2_90:                               ;   in Loop: Header=BB2_49 Depth=1
	s_or_b64 exec, exec, s[50:51]
	s_and_saveexec_b64 vcc, s[52:53]
	s_xor_b64 vcc, exec, vcc
	s_cbranch_execz .LBB2_92
; %bb.91:                               ;   in Loop: Header=BB2_49 Depth=1
	ds_write_b32 v0, v54
	s_trap 2
.LBB2_92:                               ;   in Loop: Header=BB2_49 Depth=1
	s_or_b64 exec, exec, s[48:49]
	;;#ASMSTART
	s_wakeup
	;;#ASMEND
.LBB2_93:                               ;   in Loop: Header=BB2_49 Depth=1
	s_or_b64 exec, exec, s[46:47]
.LBB2_94:                               ;   in Loop: Header=BB2_49 Depth=1
	s_andn2_saveexec_b64 vcc, s[44:45]
	s_cbranch_execz .LBB2_96
; %bb.95:                               ;   in Loop: Header=BB2_49 Depth=1
	s_waitcnt vmcnt(0) lgkmcnt(0)
	buffer_wbinvl1_vol
	s_barrier
.LBB2_96:                               ;   in Loop: Header=BB2_49 Depth=1
	s_or_b64 exec, exec, vcc
.LBB2_97:                               ;   in Loop: Header=BB2_49 Depth=1
	s_or_b64 exec, exec, s[22:23]
	s_trap 2
	ds_read_b32 v10, v0
	v_and_b32_e32 v0, 0x4000, v2
	v_cmp_ne_u32_e32 vcc, 0, v0
	s_and_b64 vcc, s[38:39], vcc
	s_and_saveexec_b64 s[22:23], vcc
	s_cbranch_execz .LBB2_116
; %bb.98:                               ;   in Loop: Header=BB2_49 Depth=1
	s_and_saveexec_b64 vcc, s[34:35]
	s_xor_b64 s[44:45], exec, vcc
	s_cbranch_execz .LBB2_113
; %bb.99:                               ;   in Loop: Header=BB2_49 Depth=1
	s_and_saveexec_b64 s[46:47], s[14:15]
	s_cbranch_execz .LBB2_112
; %bb.100:                              ;   in Loop: Header=BB2_49 Depth=1
	s_mov_b64 s[50:51], exec
	v_mbcnt_lo_u32_b32 v0, s50, 0
	v_mbcnt_hi_u32_b32 v0, s51, v0
	v_cmp_eq_u32_e32 vcc, 0, v0
	s_waitcnt vmcnt(0) lgkmcnt(0)
	buffer_wbinvl1_vol
	s_and_saveexec_b64 s[48:49], vcc
	s_cbranch_execz .LBB2_102
; %bb.101:                              ;   in Loop: Header=BB2_49 Depth=1
	s_bcnt1_i32_b64 vcc_lo, s[50:51]
	v_mov_b32_e32 v12, vcc_lo
	v_mov_b32_e32 v13, v24
	ds_add_u64 v0, v[12:13]
	s_trap 2
.LBB2_102:                              ;   in Loop: Header=BB2_49 Depth=1
	s_or_b64 exec, exec, s[48:49]
	s_trap 2
	ds_read_b64 v[12:13], v0
	v_add_co_u32_e32 v36, vcc, v36, v52
	v_addc_co_u32_e32 v37, vcc, 0, v37, vcc
	s_waitcnt lgkmcnt(0)
	v_cmp_lt_u64_e32 vcc, v[12:13], v[36:37]
	s_and_saveexec_b64 s[48:49], vcc
	s_cbranch_execz .LBB2_111
; %bb.103:                              ;   in Loop: Header=BB2_49 Depth=1
	s_mov_b32 s60, 0
	s_mov_b64 s[50:51], 0
                                        ; implicit-def: $sgpr52_sgpr53
                                        ; implicit-def: $sgpr54_sgpr55
	s_branch .LBB2_105
.LBB2_104:                              ;   in Loop: Header=BB2_105 Depth=2
	s_or_b64 exec, exec, s[58:59]
	s_and_b64 vcc, exec, vcc
	s_or_b64 s[50:51], vcc, s[50:51]
	s_andn2_b64 vcc, s[52:53], exec
	s_and_b64 s[52:53], s[54:55], exec
	s_or_b64 s[52:53], vcc, s[52:53]
	s_andn2_b64 exec, exec, s[50:51]
	s_cbranch_execz .LBB2_109
.LBB2_105:                              ;   Parent Loop BB2_49 Depth=1
                                        ; =>  This Inner Loop Header: Depth=2
	s_add_i32 s60, s60, 1
	s_cmpk_lg_i32 s60, 0x2710
	s_cselect_b64 s[56:57], -1, 0
	s_and_b64 vcc, exec, s[56:57]
                                        ; implicit-def: $sgpr58_sgpr59
	s_cbranch_vccnz .LBB2_107
; %bb.106:                              ;   in Loop: Header=BB2_105 Depth=2
	s_trap 2
	ds_read_b64 v[12:13], v0
	s_andn2_b64 s[56:57], s[56:57], exec
	s_mov_b32 s60, 0
	s_mov_b64 s[58:59], -1
	s_waitcnt lgkmcnt(0)
	flat_load_dword v0, v[12:13] glc
	s_waitcnt vmcnt(0) lgkmcnt(0)
	buffer_invl2
	buffer_wbinvl1_vol
	v_cmp_eq_u32_e32 vcc, 0, v0
	s_and_b64 vcc, vcc, exec
	s_or_b64 s[56:57], s[56:57], vcc
.LBB2_107:                              ;   in Loop: Header=BB2_105 Depth=2
	s_andn2_b64 s[54:55], s[54:55], exec
	s_and_b64 s[58:59], s[58:59], exec
	s_mov_b64 vcc, -1
	s_or_b64 s[54:55], s[54:55], s[58:59]
	s_and_saveexec_b64 s[58:59], s[56:57]
	s_cbranch_execz .LBB2_104
; %bb.108:                              ;   in Loop: Header=BB2_105 Depth=2
	s_sleep 1
	s_trap 2
	ds_read_b64 v[12:13], v0
	s_andn2_b64 s[54:55], s[54:55], exec
	s_waitcnt lgkmcnt(0)
	v_cmp_ge_u64_e32 vcc, v[12:13], v[36:37]
	s_orn2_b64 vcc, vcc, exec
	s_branch .LBB2_104
.LBB2_109:                              ;   in Loop: Header=BB2_49 Depth=1
	s_or_b64 exec, exec, s[50:51]
	s_and_saveexec_b64 vcc, s[52:53]
	s_xor_b64 vcc, exec, vcc
	s_cbranch_execz .LBB2_111
; %bb.110:                              ;   in Loop: Header=BB2_49 Depth=1
	ds_write_b32 v0, v54
	s_trap 2
.LBB2_111:                              ;   in Loop: Header=BB2_49 Depth=1
	s_or_b64 exec, exec, s[48:49]
	;;#ASMSTART
	s_wakeup
	;;#ASMEND
.LBB2_112:                              ;   in Loop: Header=BB2_49 Depth=1
	s_or_b64 exec, exec, s[46:47]
.LBB2_113:                              ;   in Loop: Header=BB2_49 Depth=1
	s_andn2_saveexec_b64 vcc, s[44:45]
	s_cbranch_execz .LBB2_115
; %bb.114:                              ;   in Loop: Header=BB2_49 Depth=1
	s_waitcnt vmcnt(0) lgkmcnt(0)
	buffer_wbinvl1_vol
	s_barrier
.LBB2_115:                              ;   in Loop: Header=BB2_49 Depth=1
	s_or_b64 exec, exec, vcc
.LBB2_116:                              ;   in Loop: Header=BB2_49 Depth=1
	s_or_b64 exec, exec, s[22:23]
	s_trap 2
	ds_read_b64 v[12:13], v0
	s_waitcnt lgkmcnt(0)
	v_readfirstlane_b32 s22, v12
	v_readfirstlane_b32 s23, v13
	s_cmp_eq_u64 s[22:23], 0
	s_cselect_b64 s[22:23], -1, 0
	s_or_b64 vcc, s[22:23], s[22:23]
	s_mov_b64 s[22:23], 0
	s_and_b64 vcc, exec, vcc
	s_cbranch_vccnz .LBB2_145
; %bb.117:                              ;   in Loop: Header=BB2_49 Depth=1
	s_mov_b64 s[22:23], -1
	s_and_saveexec_b64 s[44:45], s[16:17]
	s_cbranch_execz .LBB2_119
; %bb.118:                              ;   in Loop: Header=BB2_49 Depth=1
	ds_read_b32 v0, v0 offset:720
	s_waitcnt lgkmcnt(0)
	v_and_b32_e32 v0, 15, v0
	v_cmp_eq_u32_e32 vcc, 0, v0
	s_orn2_b64 s[22:23], vcc, exec
.LBB2_119:                              ;   in Loop: Header=BB2_49 Depth=1
	s_or_b64 exec, exec, s[44:45]
	s_and_saveexec_b64 s[44:45], s[18:19]
	s_cbranch_execz .LBB2_121
; %bb.120:                              ;   in Loop: Header=BB2_49 Depth=1
	ds_read_b32 v0, v0 offset:784
	s_waitcnt lgkmcnt(0)
	v_and_b32_e32 v0, 15, v0
	v_cmp_eq_u32_e32 vcc, 0, v0
	s_and_b64 vcc, s[22:23], vcc
	s_andn2_b64 s[22:23], s[22:23], exec
	s_and_b64 vcc, vcc, exec
	s_or_b64 s[22:23], s[22:23], vcc
.LBB2_121:                              ;   in Loop: Header=BB2_49 Depth=1
	s_or_b64 exec, exec, s[44:45]
	v_cmp_eq_u32_e32 vcc, 0, v10
	s_xor_b64 s[22:23], s[22:23], -1
	v_cndmask_b32_e32 v57, 0, v50, vcc
	v_cndmask_b32_e64 v0, 0, 1, s[22:23]
	v_mov_b32_e32 v18, 0
	v_lshlrev_b32_e32 v55, 1, v57
	s_mov_b64 s[46:47], -1
	;;#ASMSTART
	;;#ASMEND
	v_cmp_ne_u32_e32 vcc, 0, v0
	s_cbranch_vccz .LBB2_123
; %bb.122:                              ;   in Loop: Header=BB2_49 Depth=1
	v_mov_b32_e32 v19, v32
	v_mov_b32_e32 v10, v46
	s_and_saveexec_b64 s[22:23], s[46:47]
	s_cbranch_execnz .LBB2_136
	s_branch .LBB2_144
.LBB2_123:                              ;   in Loop: Header=BB2_49 Depth=1
	v_lshrrev_b32_e32 v0, 10, v57
	v_sub_u32_e32 v45, v0, v46
	v_cmp_lt_i32_e32 vcc, 0, v45
	s_and_saveexec_b64 s[22:23], vcc
	s_cbranch_execz .LBB2_127
; %bb.124:                              ;   in Loop: Header=BB2_49 Depth=1
	v_accvgpr_write_b32 a16, v46
	v_accvgpr_write_b32 a9, v47
	s_trap 2
	ds_read_b128 v[10:13], v0
	ds_read_b64 v[46:47], v0
	v_accvgpr_write_b32 a26, v0
	v_accvgpr_read_b32 v0, a18
	v_accvgpr_write_b32 a8, v56
	s_waitcnt lgkmcnt(0)
	v_add_co_u32_e32 v56, vcc, v10, v0
	v_accvgpr_read_b32 v1, a17
	v_accvgpr_write_b32 a23, v57
	v_accvgpr_write_b32 a10, v58
	v_addc_co_u32_e32 v57, vcc, v11, v1, vcc
	v_accvgpr_write_b32 a11, v59
	v_add_co_u32_e32 v58, vcc, v12, v0
	v_accvgpr_write_b32 a12, v60
	v_addc_co_u32_e32 v59, vcc, v13, v1, vcc
	v_accvgpr_write_b32 a13, v61
	v_add_co_u32_e32 v60, vcc, v46, v0
	v_accvgpr_write_b32 a14, v24
	v_accvgpr_write_b32 a3, v32
	v_addc_co_u32_e32 v61, vcc, v47, v1, vcc
	s_mov_b64 s[44:45], 0
.LBB2_125:                              ;   Parent Loop BB2_49 Depth=1
                                        ; =>  This Inner Loop Header: Depth=2
	global_load_dwordx4 v[14:17], v[56:57], off glc slc
	global_load_dwordx4 v[10:13], v[56:57], off offset:1024 glc slc
	global_load_dwordx4 v[22:25], v[58:59], off glc slc
	global_load_dwordx4 v[18:21], v[58:59], off offset:1024 glc slc
	v_add_co_u32_e32 v56, vcc, v56, v41
	v_addc_co_u32_e32 v57, vcc, v57, v40, vcc
	v_add_co_u32_e32 v58, vcc, v58, v41
	v_addc_co_u32_e32 v59, vcc, v59, v40, vcc
	v_sub_u32_e32 v45, v45, v52
	v_cmp_gt_i32_e32 vcc, 1, v45
	s_or_b64 s[44:45], vcc, s[44:45]
	s_waitcnt vmcnt(0)
	v_lshrrev_b32_e32 v0, 16, v14
	v_lshrrev_b32_e32 v1, 16, v15
	;; [unrolled: 1-line block ×12, first 2 shown]
	v_fma_f16 v14, v46, v14, v22
	v_fma_f16 v15, v46, v15, v23
	;; [unrolled: 1-line block ×4, first 2 shown]
	v_lshrrev_b32_e32 v22, 16, v18
	v_lshrrev_b32_e32 v23, 16, v19
	;; [unrolled: 1-line block ×4, first 2 shown]
	v_fma_f16 v10, v46, v10, v18
	v_fma_f16 v18, v46, v11, v19
	;; [unrolled: 1-line block ×8, first 2 shown]
	v_and_b32_e32 v12, 0xffff, v14
	v_and_b32_e32 v14, 0xffff, v16
	v_fma_f16 v16, v46, v33, v22
	v_fma_f16 v20, v46, v47, v23
	v_and_b32_e32 v21, 0xffff, v10
	v_fma_f16 v10, v46, v49, v24
	v_fma_f16 v22, v46, v51, v25
	v_lshlrev_b32_e32 v1, 16, v1
	v_lshlrev_b32_e32 v0, 16, v0
	;; [unrolled: 1-line block ×4, first 2 shown]
	v_and_b32_e32 v23, 0xffff, v11
	v_lshlrev_b32_e32 v20, 16, v20
	v_lshlrev_b32_e32 v16, 16, v16
	;; [unrolled: 1-line block ×4, first 2 shown]
	v_or_b32_sdwa v11, v1, v15 dst_sel:DWORD dst_unused:UNUSED_PAD src0_sel:DWORD src1_sel:WORD_0
	v_or_b32_e32 v10, v0, v12
	v_or_b32_sdwa v13, v3, v17 dst_sel:DWORD dst_unused:UNUSED_PAD src0_sel:DWORD src1_sel:WORD_0
	v_or_b32_e32 v12, v24, v14
	v_or_b32_sdwa v15, v20, v18 dst_sel:DWORD dst_unused:UNUSED_PAD src0_sel:DWORD src1_sel:WORD_0
	v_or_b32_e32 v14, v16, v21
	v_or_b32_sdwa v17, v22, v19 dst_sel:DWORD dst_unused:UNUSED_PAD src0_sel:DWORD src1_sel:WORD_0
	v_or_b32_e32 v16, v25, v23
	global_store_dwordx4 v[60:61], v[10:13], off glc slc
	global_store_dwordx4 v[60:61], v[14:17], off offset:1024 glc slc
	v_add_co_u32_e32 v60, vcc, v60, v41
	v_addc_co_u32_e32 v61, vcc, v61, v40, vcc
	s_andn2_b64 exec, exec, s[44:45]
	s_cbranch_execnz .LBB2_125
; %bb.126:                              ;   in Loop: Header=BB2_49 Depth=1
	s_or_b64 exec, exec, s[44:45]
	v_accvgpr_read_b32 v59, a11
	v_accvgpr_read_b32 v61, a13
	;; [unrolled: 1-line block ×14, first 2 shown]
	v_mov_b32_e32 v54, 1
	v_accvgpr_read_b32 v26, a24
	v_accvgpr_read_b32 v57, a23
	;; [unrolled: 1-line block ×3, first 2 shown]
.LBB2_127:                              ;   in Loop: Header=BB2_49 Depth=1
	s_or_b64 exec, exec, s[22:23]
	v_lshlrev_b32_e32 v22, 11, v0
	v_cmp_ne_u32_e32 vcc, v55, v22
	s_mov_b64 s[46:47], 0
	v_mov_b32_e32 v18, 0
                                        ; implicit-def: $vgpr19
                                        ; implicit-def: $vgpr10
	s_and_saveexec_b64 s[44:45], vcc
	s_cbranch_execz .LBB2_135
; %bb.128:                              ;   in Loop: Header=BB2_49 Depth=1
	v_lshlrev_b32_e32 v1, 6, v45
	v_accvgpr_read_b32 v3, a15
	v_sub_u32_e32 v1, v3, v1
	v_ashrrev_i32_e32 v3, 31, v1
	v_lshrrev_b32_e32 v3, 26, v3
	v_add_u32_e32 v3, v1, v3
	v_ashrrev_i32_e32 v11, 6, v3
	v_and_b32_e32 v3, 0xffffffc0, v3
	v_sub_u32_e32 v23, v1, v3
	v_sub_u32_e32 v0, v55, v22
	v_lshlrev_b32_e32 v1, 4, v23
	v_lshl_add_u32 v10, v11, 10, v1
	v_ashrrev_i32_e32 v1, 31, v0
	v_lshrrev_b32_e32 v1, 22, v1
	v_add_u32_e32 v1, v0, v1
	v_accvgpr_write_b32 a10, v24
	v_and_b32_e32 v24, 0xfffffc00, v1
	v_sub_u32_e32 v26, v0, v24
	v_ashrrev_i32_e32 v3, 10, v1
	v_cmp_lt_i32_e32 vcc, 15, v26
	v_sub_u32_e32 v27, v0, v10
	v_addc_co_u32_e64 v0, s[22:23], 0, v3, vcc
	v_sub_u32_e32 v25, v0, v11
	v_cmp_lt_i32_e64 s[22:23], 15, v27
	s_and_saveexec_b64 s[46:47], s[22:23]
	s_cbranch_execz .LBB2_132
; %bb.129:                              ;   in Loop: Header=BB2_49 Depth=1
	s_trap 2
	ds_read_b128 v[16:19], v0
	v_add_u32_e32 v0, v10, v22
	ds_read_b64 v[14:15], v0
	v_ashrrev_i32_e32 v1, 31, v0
	v_accvgpr_write_b32 a8, v58
	s_waitcnt lgkmcnt(0)
	v_add_co_u32_e64 v16, s[22:23], v16, v0
	v_addc_co_u32_e64 v17, s[22:23], v17, v1, s[22:23]
	v_add_co_u32_e64 v18, s[22:23], v18, v0
	v_addc_co_u32_e64 v19, s[22:23], v19, v1, s[22:23]
	v_add_co_u32_e64 v20, s[22:23], v14, v0
	v_accvgpr_write_b32 a3, v57
	v_accvgpr_write_b32 a9, v59
	v_mov_b32_e32 v54, v56
	v_mov_b32_e32 v53, v32
	v_addc_co_u32_e64 v21, s[22:23], v15, v1, s[22:23]
	s_mov_b64 s[48:49], 0
.LBB2_130:                              ;   Parent Loop BB2_49 Depth=1
                                        ; =>  This Inner Loop Header: Depth=2
	global_load_dwordx4 v[10:13], v[16:17], off glc slc
	global_load_dwordx4 v[56:59], v[18:19], off glc slc
	v_add_co_u32_e64 v16, s[22:23], v16, v49
	v_addc_co_u32_e64 v17, s[22:23], v17, v51, s[22:23]
	v_add_co_u32_e64 v18, s[22:23], v18, v49
	v_addc_co_u32_e64 v19, s[22:23], v19, v51, s[22:23]
	v_sub_u32_e32 v27, v27, v33
	v_cmp_gt_i32_e64 s[22:23], 16, v27
	s_or_b64 s[48:49], s[22:23], s[48:49]
	v_sub_u32_e32 v25, v25, v52
	s_waitcnt vmcnt(0)
	v_lshrrev_b32_e32 v0, 16, v10
	v_lshrrev_b32_e32 v1, 16, v11
	v_lshrrev_b32_e32 v3, 16, v12
	v_lshrrev_b32_e32 v15, 16, v13
	v_lshrrev_b32_e32 v32, 16, v56
	v_lshrrev_b32_e32 v33, 16, v57
	v_lshrrev_b32_e32 v49, 16, v58
	v_lshrrev_b32_e32 v51, 16, v59
	v_fma_f16 v10, v14, v10, v56
	v_fma_f16 v12, v14, v12, v58
	;; [unrolled: 1-line block ×8, first 2 shown]
	v_and_b32_e32 v10, 0xffff, v10
	v_and_b32_e32 v12, 0xffff, v12
	v_lshlrev_b32_e32 v1, 16, v1
	v_lshlrev_b32_e32 v0, 16, v0
	;; [unrolled: 1-line block ×4, first 2 shown]
	v_accvgpr_read_b32 v49, a20
	v_or_b32_sdwa v11, v1, v11 dst_sel:DWORD dst_unused:UNUSED_PAD src0_sel:DWORD src1_sel:WORD_0
	v_or_b32_e32 v10, v0, v10
	v_or_b32_sdwa v13, v15, v13 dst_sel:DWORD dst_unused:UNUSED_PAD src0_sel:DWORD src1_sel:WORD_0
	v_or_b32_e32 v12, v3, v12
	v_accvgpr_read_b32 v51, a21
	global_store_dwordx4 v[20:21], v[10:13], off glc slc
	v_add_co_u32_e64 v20, s[22:23], v20, v49
	v_accvgpr_read_b32 v33, a19
	v_addc_co_u32_e64 v21, s[22:23], v21, v51, s[22:23]
	s_andn2_b64 exec, exec, s[48:49]
	s_cbranch_execnz .LBB2_130
; %bb.131:                              ;   in Loop: Header=BB2_49 Depth=1
	s_or_b64 exec, exec, s[48:49]
	v_accvgpr_read_b32 v59, a9
	v_mov_b32_e32 v32, v53
	v_mov_b32_e32 v56, v54
	v_accvgpr_read_b32 v58, a8
	v_accvgpr_read_b32 v53, a22
	v_mov_b32_e32 v54, 1
	v_accvgpr_read_b32 v57, a3
.LBB2_132:                              ;   in Loop: Header=BB2_49 Depth=1
	s_or_b64 exec, exec, s[46:47]
	v_and_b32_e32 v11, 14, v55
	v_cndmask_b32_e32 v55, v26, v11, vcc
	v_cmp_ne_u32_e64 s[22:23], 0, v55
	s_mov_b64 s[46:47], 0
	v_mov_b32_e32 v18, 0
                                        ; implicit-def: $vgpr19
                                        ; implicit-def: $vgpr10
	s_and_saveexec_b64 s[48:49], s[22:23]
	s_cbranch_execz .LBB2_134
; %bb.133:                              ;   in Loop: Header=BB2_49 Depth=1
	v_sub_u32_e32 v0, v26, v11
	v_cndmask_b32_e32 v0, 0, v0, vcc
	v_cmp_lt_i32_e32 vcc, 0, v25
	v_add3_u32 v18, v24, v22, v0
	v_cndmask_b32_e32 v0, 0, v52, vcc
	v_sub_u32_e32 v0, v0, v25
	v_lshl_add_u32 v19, v0, 6, v23
	v_ashrrev_i32_e32 v0, 31, v19
	v_lshrrev_b32_e32 v0, 26, v0
	v_add_u32_e32 v0, v19, v0
	s_mov_b64 s[46:47], exec
	v_ashrrev_i32_e32 v10, 6, v0
.LBB2_134:                              ;   in Loop: Header=BB2_49 Depth=1
	s_or_b64 exec, exec, s[48:49]
	v_accvgpr_read_b32 v27, a25
	s_and_b64 s[46:47], s[46:47], exec
	v_accvgpr_read_b32 v24, a10
	v_accvgpr_read_b32 v26, a24
.LBB2_135:                              ;   in Loop: Header=BB2_49 Depth=1
	s_or_b64 exec, exec, s[44:45]
	s_and_saveexec_b64 s[22:23], s[46:47]
	s_cbranch_execz .LBB2_144
.LBB2_136:                              ;   in Loop: Header=BB2_49 Depth=1
	v_ashrrev_i32_e32 v0, 31, v55
	v_add_u32_sdwa v0, v55, v0 dst_sel:DWORD dst_unused:UNUSED_PAD src0_sel:DWORD src1_sel:BYTE_3
	v_ashrrev_i32_e32 v22, 8, v0
	v_sub_u32_e32 v20, v22, v10
	v_ashrrev_i32_e32 v0, 31, v19
	v_cmp_lt_i32_e32 vcc, 0, v20
	v_lshrrev_b32_e32 v21, 26, v0
	s_and_saveexec_b64 s[44:45], vcc
	s_cbranch_execz .LBB2_140
; %bb.137:                              ;   in Loop: Header=BB2_49 Depth=1
	v_add_u32_e32 v0, v19, v21
	v_and_b32_e32 v0, 0x7fffffc0, v0
	v_sub_u32_e32 v0, v19, v0
	v_lshlrev_b32_e32 v0, 1, v0
	s_trap 2
	ds_read_b128 v[12:15], v0
	v_lshlrev_b32_e32 v1, 8, v10
	v_add3_u32 v0, v0, v18, v1
	ds_read_b64 v[10:11], v0
	v_ashrrev_i32_e32 v1, 31, v0
	s_waitcnt lgkmcnt(0)
	v_add_co_u32_e32 v12, vcc, v12, v0
	v_addc_co_u32_e32 v13, vcc, v13, v1, vcc
	v_add_co_u32_e32 v14, vcc, v14, v0
	v_addc_co_u32_e32 v15, vcc, v15, v1, vcc
	v_add_co_u32_e32 v16, vcc, v10, v0
	v_addc_co_u32_e32 v17, vcc, v11, v1, vcc
	s_mov_b64 s[46:47], 0
.LBB2_138:                              ;   Parent Loop BB2_49 Depth=1
                                        ; =>  This Inner Loop Header: Depth=2
	flat_load_ushort v0, v[12:13] glc slc
	flat_load_ushort v1, v[12:13] offset:128 glc slc
	flat_load_ushort v3, v[14:15] glc slc
	flat_load_ushort v11, v[14:15] offset:128 glc slc
	v_add_co_u32_e32 v12, vcc, v12, v62
	v_addc_co_u32_e32 v13, vcc, v13, v31, vcc
	v_add_co_u32_e32 v14, vcc, v14, v62
	v_addc_co_u32_e32 v15, vcc, v15, v31, vcc
	v_sub_u32_e32 v20, v20, v52
	v_cmp_gt_i32_e32 vcc, 1, v20
	s_or_b64 s[46:47], vcc, s[46:47]
	s_waitcnt vmcnt(0) lgkmcnt(0)
	v_fma_f16 v0, v0, v10, v3
	v_fma_f16 v1, v1, v10, v11
	flat_store_short v[16:17], v0 glc slc
	flat_store_short v[16:17], v1 offset:128 glc slc
	v_add_co_u32_e32 v16, vcc, v16, v62
	v_addc_co_u32_e32 v17, vcc, v17, v31, vcc
	s_andn2_b64 exec, exec, s[46:47]
	s_cbranch_execnz .LBB2_138
; %bb.139:                              ;   in Loop: Header=BB2_49 Depth=1
	s_or_b64 exec, exec, s[46:47]
.LBB2_140:                              ;   in Loop: Header=BB2_49 Depth=1
	s_or_b64 exec, exec, s[44:45]
	v_lshlrev_b32_e32 v10, 8, v22
	v_cmp_ne_u32_e32 vcc, v55, v10
	s_and_b64 exec, exec, vcc
	s_cbranch_execz .LBB2_144
; %bb.141:                              ;   in Loop: Header=BB2_49 Depth=1
	v_add_u32_e32 v0, v19, v21
	v_and_b32_e32 v0, 0xffffffc0, v0
	v_sub_u32_e32 v0, v19, v0
	v_lshlrev_b32_e32 v1, 6, v20
	v_sub_u32_e32 v0, v0, v1
	v_ashrrev_i32_e32 v1, 31, v0
	v_lshrrev_b32_e32 v1, 26, v1
	v_add_u32_e32 v1, v0, v1
	v_and_b32_e32 v3, 0x7fffffc0, v1
	v_sub_u32_e32 v0, v0, v3
	v_lshlrev_b32_e32 v1, 1, v1
	v_and_b32_e32 v1, 0xffffff80, v1
	v_lshlrev_b32_e32 v0, 1, v0
	v_add3_u32 v10, v1, v0, v10
	v_sub_u32_e32 v19, v55, v10
	v_cmp_lt_i32_e32 vcc, 1, v19
	s_and_b64 exec, exec, vcc
	s_cbranch_execz .LBB2_144
; %bb.142:                              ;   in Loop: Header=BB2_49 Depth=1
	s_trap 2
	ds_read_b128 v[12:15], v0
	v_add_u32_e32 v0, v10, v18
	ds_read_b64 v[10:11], v0
	v_ashrrev_i32_e32 v1, 31, v0
	s_mov_b64 s[44:45], 0
	s_waitcnt lgkmcnt(0)
	v_add_co_u32_e32 v12, vcc, v12, v0
	v_addc_co_u32_e32 v13, vcc, v13, v1, vcc
	v_add_co_u32_e32 v14, vcc, v14, v0
	v_addc_co_u32_e32 v15, vcc, v15, v1, vcc
	;; [unrolled: 2-line block ×3, first 2 shown]
.LBB2_143:                              ;   Parent Loop BB2_49 Depth=1
                                        ; =>  This Inner Loop Header: Depth=2
	flat_load_ushort v0, v[12:13] glc slc
	flat_load_ushort v1, v[14:15] glc slc
	v_add_co_u32_e32 v12, vcc, v12, v30
	v_addc_co_u32_e32 v13, vcc, v13, v48, vcc
	v_add_co_u32_e32 v14, vcc, v14, v30
	v_addc_co_u32_e32 v15, vcc, v15, v48, vcc
	v_sub_u32_e32 v19, v19, v53
	v_cmp_gt_i32_e32 vcc, 2, v19
	s_or_b64 s[44:45], vcc, s[44:45]
	s_waitcnt vmcnt(0) lgkmcnt(0)
	v_fma_f16 v0, v0, v10, v1
	flat_store_short v[16:17], v0 glc slc
	v_add_co_u32_e32 v16, vcc, v16, v30
	v_addc_co_u32_e32 v17, vcc, v17, v48, vcc
	s_andn2_b64 exec, exec, s[44:45]
	s_cbranch_execnz .LBB2_143
.LBB2_144:                              ;   in Loop: Header=BB2_49 Depth=1
	s_or_b64 exec, exec, s[22:23]
	v_cmp_ne_u32_e64 s[22:23], 0, v57
.LBB2_145:                              ;   in Loop: Header=BB2_49 Depth=1
	s_and_saveexec_b64 s[44:45], s[12:13]
	s_cbranch_execz .LBB2_164
; %bb.146:                              ;   in Loop: Header=BB2_49 Depth=1
	s_and_saveexec_b64 vcc, s[34:35]
	s_xor_b64 s[46:47], exec, vcc
	s_cbranch_execz .LBB2_161
; %bb.147:                              ;   in Loop: Header=BB2_49 Depth=1
	s_and_saveexec_b64 s[48:49], s[14:15]
	s_cbranch_execz .LBB2_160
; %bb.148:                              ;   in Loop: Header=BB2_49 Depth=1
	s_mov_b64 s[52:53], exec
	v_mbcnt_lo_u32_b32 v0, s52, 0
	v_mbcnt_hi_u32_b32 v0, s53, v0
	v_cmp_eq_u32_e32 vcc, 0, v0
	s_waitcnt vmcnt(0) lgkmcnt(0)
	buffer_wbinvl1_vol
	s_and_saveexec_b64 s[50:51], vcc
	s_cbranch_execz .LBB2_150
; %bb.149:                              ;   in Loop: Header=BB2_49 Depth=1
	s_bcnt1_i32_b64 vcc_lo, s[52:53]
	v_mov_b32_e32 v10, vcc_lo
	v_mov_b32_e32 v11, v24
	ds_add_u64 v0, v[10:11]
	s_trap 2
.LBB2_150:                              ;   in Loop: Header=BB2_49 Depth=1
	s_or_b64 exec, exec, s[50:51]
	s_trap 2
	ds_read_b64 v[10:11], v0
	v_add_co_u32_e32 v36, vcc, v36, v52
	v_addc_co_u32_e32 v37, vcc, 0, v37, vcc
	s_waitcnt lgkmcnt(0)
	v_cmp_lt_u64_e32 vcc, v[10:11], v[36:37]
	s_and_saveexec_b64 s[50:51], vcc
	s_cbranch_execz .LBB2_159
; %bb.151:                              ;   in Loop: Header=BB2_49 Depth=1
	s_mov_b32 s66, 0
	s_mov_b64 s[52:53], 0
                                        ; implicit-def: $sgpr54_sgpr55
                                        ; implicit-def: $sgpr56_sgpr57
	s_branch .LBB2_153
.LBB2_152:                              ;   in Loop: Header=BB2_153 Depth=2
	s_or_b64 exec, exec, s[60:61]
	s_and_b64 vcc, exec, vcc
	s_or_b64 s[52:53], vcc, s[52:53]
	s_andn2_b64 vcc, s[54:55], exec
	s_and_b64 s[54:55], s[56:57], exec
	s_or_b64 s[54:55], vcc, s[54:55]
	s_andn2_b64 exec, exec, s[52:53]
	s_cbranch_execz .LBB2_157
.LBB2_153:                              ;   Parent Loop BB2_49 Depth=1
                                        ; =>  This Inner Loop Header: Depth=2
	s_add_i32 s66, s66, 1
	s_cmpk_lg_i32 s66, 0x2710
	s_cselect_b64 s[58:59], -1, 0
	s_and_b64 vcc, exec, s[58:59]
                                        ; implicit-def: $sgpr60_sgpr61
	s_cbranch_vccnz .LBB2_155
; %bb.154:                              ;   in Loop: Header=BB2_153 Depth=2
	s_trap 2
	ds_read_b64 v[10:11], v0
	s_andn2_b64 s[58:59], s[58:59], exec
	s_mov_b32 s66, 0
	s_mov_b64 s[60:61], -1
	s_waitcnt lgkmcnt(0)
	flat_load_dword v0, v[10:11] glc
	s_waitcnt vmcnt(0) lgkmcnt(0)
	buffer_invl2
	buffer_wbinvl1_vol
	v_cmp_eq_u32_e32 vcc, 0, v0
	s_and_b64 vcc, vcc, exec
	s_or_b64 s[58:59], s[58:59], vcc
.LBB2_155:                              ;   in Loop: Header=BB2_153 Depth=2
	s_andn2_b64 s[56:57], s[56:57], exec
	s_and_b64 s[60:61], s[60:61], exec
	s_mov_b64 vcc, -1
	s_or_b64 s[56:57], s[56:57], s[60:61]
	s_and_saveexec_b64 s[60:61], s[58:59]
	s_cbranch_execz .LBB2_152
; %bb.156:                              ;   in Loop: Header=BB2_153 Depth=2
	s_sleep 1
	s_trap 2
	ds_read_b64 v[10:11], v0
	s_andn2_b64 s[56:57], s[56:57], exec
	s_waitcnt lgkmcnt(0)
	v_cmp_ge_u64_e32 vcc, v[10:11], v[36:37]
	s_orn2_b64 vcc, vcc, exec
	s_branch .LBB2_152
.LBB2_157:                              ;   in Loop: Header=BB2_49 Depth=1
	s_or_b64 exec, exec, s[52:53]
	s_and_saveexec_b64 vcc, s[54:55]
	s_xor_b64 vcc, exec, vcc
	s_cbranch_execz .LBB2_159
; %bb.158:                              ;   in Loop: Header=BB2_49 Depth=1
	ds_write_b32 v0, v54
	s_trap 2
.LBB2_159:                              ;   in Loop: Header=BB2_49 Depth=1
	s_or_b64 exec, exec, s[50:51]
	;;#ASMSTART
	s_wakeup
	;;#ASMEND
.LBB2_160:                              ;   in Loop: Header=BB2_49 Depth=1
	s_or_b64 exec, exec, s[48:49]
.LBB2_161:                              ;   in Loop: Header=BB2_49 Depth=1
	s_andn2_saveexec_b64 vcc, s[46:47]
	s_cbranch_execz .LBB2_163
; %bb.162:                              ;   in Loop: Header=BB2_49 Depth=1
	s_waitcnt vmcnt(0) lgkmcnt(0)
	buffer_wbinvl1_vol
	s_barrier
.LBB2_163:                              ;   in Loop: Header=BB2_49 Depth=1
	s_or_b64 exec, exec, vcc
.LBB2_164:                              ;   in Loop: Header=BB2_49 Depth=1
	s_or_b64 exec, exec, s[44:45]
	v_and_b32_e32 v10, 16, v2
	v_cmp_ne_u32_e32 vcc, 0, v10
	s_and_b64 vcc, vcc, s[22:23]
	s_and_saveexec_b64 s[22:23], vcc
	s_cbranch_execz .LBB2_166
; %bb.165:                              ;   in Loop: Header=BB2_49 Depth=1
	s_waitcnt vmcnt(0) lgkmcnt(0)
	buffer_wbinvl1_vol
.LBB2_166:                              ;   in Loop: Header=BB2_49 Depth=1
	s_or_b64 exec, exec, s[22:23]
	v_cmp_ne_u32_e32 vcc, 0, v10
	s_xor_b64 s[22:23], s[20:21], -1
	s_and_b64 vcc, vcc, s[22:23]
	s_and_saveexec_b64 s[22:23], vcc
	s_cbranch_execz .LBB2_168
; %bb.167:                              ;   in Loop: Header=BB2_49 Depth=1
	flat_store_dword v[60:61], v54
.LBB2_168:                              ;   in Loop: Header=BB2_49 Depth=1
	s_or_b64 exec, exec, s[22:23]
	v_and_b32_e32 v0, 48, v2
	v_cmp_ne_u32_e32 vcc, 0, v0
	s_and_saveexec_b64 s[22:23], vcc
	s_cbranch_execz .LBB2_170
; %bb.169:                              ;   in Loop: Header=BB2_49 Depth=1
	v_add_co_u32_e32 v8, vcc, 1, v8
	v_addc_co_u32_e32 v9, vcc, 0, v9, vcc
	flat_store_dwordx2 v[28:29], v[8:9]
.LBB2_170:                              ;   in Loop: Header=BB2_49 Depth=1
	s_or_b64 exec, exec, s[22:23]
	v_mov_b32_e32 v11, v50
.LBB2_171:                              ;   in Loop: Header=BB2_49 Depth=1
	s_or_b64 exec, exec, s[42:43]
	s_and_saveexec_b64 s[42:43], s[40:41]
	s_cbranch_execz .LBB2_48
; %bb.172:                              ;   in Loop: Header=BB2_49 Depth=1
	v_and_b32_e32 v0, 12, v2
	v_cmp_ne_u32_e32 vcc, 0, v0
	s_mov_b64 s[40:41], -1
	s_and_saveexec_b64 s[22:23], vcc
	s_cbranch_execz .LBB2_184
; %bb.173:                              ;   in Loop: Header=BB2_49 Depth=1
	v_and_b32_e32 v10, 8, v2
	v_add_co_u32_e32 v14, vcc, v34, v10
	v_addc_co_u32_e32 v15, vcc, 0, v35, vcc
	v_add_co_u32_e32 v12, vcc, 1, v8
	v_addc_co_u32_e32 v13, vcc, 0, v9, vcc
	v_cmp_lt_u64_e32 vcc, v[14:15], v[12:13]
	v_mov_b32_e32 v14, 1
	s_and_saveexec_b64 s[40:41], vcc
	s_cbranch_execz .LBB2_183
; %bb.174:                              ;   in Loop: Header=BB2_49 Depth=1
	s_mov_b64 s[44:45], 0
	v_mov_b32_e32 v14, 0
                                        ; implicit-def: $sgpr46_sgpr47
	s_branch .LBB2_178
.LBB2_175:                              ;   in Loop: Header=BB2_178 Depth=2
	s_or_b64 exec, exec, s[54:55]
	v_mov_b32_e32 v15, 0
	s_orn2_b64 s[52:53], s[52:53], exec
.LBB2_176:                              ;   in Loop: Header=BB2_178 Depth=2
	s_or_b64 exec, exec, s[50:51]
	s_andn2_b64 vcc, s[46:47], exec
	s_and_b64 s[46:47], s[52:53], exec
	s_or_b64 s[46:47], vcc, s[46:47]
	v_mov_b32_e32 v14, v15
.LBB2_177:                              ;   in Loop: Header=BB2_178 Depth=2
	s_or_b64 exec, exec, s[48:49]
	s_waitcnt vmcnt(0) lgkmcnt(0)
	v_add_co_u32_e32 v16, vcc, v34, v10
	v_addc_co_u32_e32 v17, vcc, 0, v35, vcc
	v_cmp_ge_u64_e32 vcc, v[16:17], v[12:13]
	s_xor_b64 s[48:49], s[46:47], -1
	s_or_b64 vcc, s[48:49], vcc
	s_and_b64 vcc, exec, vcc
	s_or_b64 s[44:45], vcc, s[44:45]
	s_andn2_b64 exec, exec, s[44:45]
	s_cbranch_execz .LBB2_182
.LBB2_178:                              ;   Parent Loop BB2_49 Depth=1
                                        ; =>  This Inner Loop Header: Depth=2
	s_sleep 1
	flat_load_dwordx2 v[34:35], v[28:29] glc
	v_and_b32_e32 v0, 64, v2
	v_cmp_eq_u32_e32 vcc, 0, v0
	s_andn2_b64 s[46:47], s[46:47], exec
	s_and_saveexec_b64 s[48:49], vcc
	s_cbranch_execz .LBB2_177
; %bb.179:                              ;   in Loop: Header=BB2_178 Depth=2
	v_add_u32_e32 v15, 1, v14
	v_cmp_lt_i32_e32 vcc, s64, v14
	s_mov_b64 s[52:53], -1
	s_and_saveexec_b64 s[50:51], vcc
	s_cbranch_execz .LBB2_176
; %bb.180:                              ;   in Loop: Header=BB2_178 Depth=2
	s_trap 2
	ds_read_b64 v[14:15], v0
	s_waitcnt vmcnt(0) lgkmcnt(0)
	flat_load_dword v14, v[14:15] glc
	s_waitcnt vmcnt(0) lgkmcnt(0)
	buffer_invl2
	buffer_wbinvl1_vol
	v_cmp_ne_u32_e32 vcc, 0, v14
	s_and_saveexec_b64 s[54:55], vcc
	s_cbranch_execz .LBB2_175
; %bb.181:                              ;   in Loop: Header=BB2_178 Depth=2
	v_or_b32_e32 v2, 64, v2
	s_xor_b64 s[52:53], exec, -1
	ds_write_b32 v0, v14
	s_trap 2
	s_branch .LBB2_175
.LBB2_182:                              ;   in Loop: Header=BB2_49 Depth=1
	s_or_b64 exec, exec, s[44:45]
	v_and_b32_e32 v14, 12, v2
.LBB2_183:                              ;   in Loop: Header=BB2_49 Depth=1
	s_or_b64 exec, exec, s[40:41]
	v_cmp_eq_u32_e32 vcc, 0, v14
	s_orn2_b64 s[40:41], vcc, exec
	;;#ASMSTART
	s_wakeup
	;;#ASMEND
.LBB2_184:                              ;   in Loop: Header=BB2_49 Depth=1
	s_or_b64 exec, exec, s[22:23]
	v_sub_u32_e32 v0, v44, v11
	s_xor_b64 s[22:23], s[40:41], -1
	v_min_i32_e32 v10, v50, v0
	s_and_saveexec_b64 s[40:41], s[22:23]
	s_cbranch_execz .LBB2_198
; %bb.185:                              ;   in Loop: Header=BB2_49 Depth=1
	v_and_b32_e32 v0, 0x108, v2
	v_cmp_ne_u32_e32 vcc, s65, v0
	v_and_b32_e32 v12, 7, v8
	s_and_saveexec_b64 s[22:23], vcc
	s_xor_b64 s[22:23], exec, s[22:23]
                                        ; implicit-def: $vgpr14_vgpr15
; %bb.186:                              ;   in Loop: Header=BB2_49 Depth=1
	v_mov_b32_e32 v15, v24
; %bb.187:                              ;   in Loop: Header=BB2_49 Depth=1
	s_andn2_saveexec_b64 s[22:23], s[22:23]
	s_cbranch_execz .LBB2_189
; %bb.188:                              ;   in Loop: Header=BB2_49 Depth=1
	v_ashrrev_i32_e32 v11, 31, v10
	v_mov_b32_e32 v15, v24
	v_mad_u64_u32 v[16:17], vcc, v12, 24, v[6:7]
	v_lshlrev_b64 v[18:19], 1, v[10:11]
	flat_store_dwordx2 v[16:17], v[18:19] offset:8
.LBB2_189:                              ;   in Loop: Header=BB2_49 Depth=1
	s_or_b64 exec, exec, s[22:23]
	v_and_b32_e32 v0, 0x100, v2
	v_cmp_ne_u32_e32 vcc, 0, v0
	s_mov_b64 s[22:23], -1
                                        ; implicit-def: $vgpr16_vgpr17
	s_and_saveexec_b64 s[44:45], vcc
	s_cbranch_execz .LBB2_193
; %bb.190:                              ;   in Loop: Header=BB2_49 Depth=1
	v_mad_u64_u32 v[18:19], s[22:23], v12, 24, v[6:7]
	v_mov_b32_e32 v14, v19
	v_mad_u64_u32 v[16:17], s[22:23], v15, 24, v[14:15]
	v_mov_b32_e32 v19, v16
	flat_load_dword v0, v[18:19]
                                        ; implicit-def: $vgpr16_vgpr17
	s_waitcnt vmcnt(0) lgkmcnt(0)
	v_cmp_ne_u32_e32 vcc, 1, v0
	v_cmp_eq_u32_e64 s[22:23], 1, v0
	s_and_saveexec_b64 s[46:47], s[22:23]
	s_cbranch_execz .LBB2_192
; %bb.191:                              ;   in Loop: Header=BB2_49 Depth=1
	flat_load_dword v16, v[18:19] offset:4 glc
	s_waitcnt vmcnt(0) lgkmcnt(0)
	v_ashrrev_i32_e32 v17, 31, v16
	v_lshrrev_b64 v[16:17], 1, v[16:17]
.LBB2_192:                              ;   in Loop: Header=BB2_49 Depth=1
	s_or_b64 exec, exec, s[46:47]
	s_orn2_b64 s[22:23], vcc, exec
.LBB2_193:                              ;   in Loop: Header=BB2_49 Depth=1
	s_or_b64 exec, exec, s[44:45]
	s_and_saveexec_b64 vcc, s[22:23]
; %bb.194:                              ;   in Loop: Header=BB2_49 Depth=1
	v_mul_lo_u32 v0, v15, v56
	v_mul_lo_u32 v1, v12, v47
	v_mad_u64_u32 v[16:17], s[22:23], v12, v56, 0
	v_add3_u32 v17, v17, v1, v0
; %bb.195:                              ;   in Loop: Header=BB2_49 Depth=1
	s_or_b64 exec, exec, vcc
	v_lshlrev_b64 v[12:13], 1, v[16:17]
	v_add_co_u32_e32 v12, vcc, v58, v12
	v_addc_co_u32_e32 v13, vcc, v59, v13, vcc
	s_trap 2
	ds_write_b64 v0, v[12:13]
	v_and_b32_e32 v0, 0x2000, v2
	v_cmp_ne_u32_e32 vcc, 0, v0
	s_and_saveexec_b64 s[22:23], vcc
	s_cbranch_execz .LBB2_197
; %bb.196:                              ;   in Loop: Header=BB2_49 Depth=1
	ds_read_b64 v[12:13], v0 offset:584
	s_waitcnt lgkmcnt(0)
	v_add_co_u32_e32 v12, vcc, 1, v12
	v_addc_co_u32_e32 v13, vcc, 0, v13, vcc
	ds_write_b64 v0, v[12:13] offset:584
.LBB2_197:                              ;   in Loop: Header=BB2_49 Depth=1
	s_or_b64 exec, exec, s[22:23]
	v_add_co_u32_e32 v8, vcc, 1, v8
	v_addc_co_u32_e32 v9, vcc, 0, v9, vcc
.LBB2_198:                              ;   in Loop: Header=BB2_49 Depth=1
	s_or_b64 exec, exec, s[40:41]
	s_and_saveexec_b64 s[22:23], s[12:13]
	s_cbranch_execz .LBB2_217
; %bb.199:                              ;   in Loop: Header=BB2_49 Depth=1
	s_and_saveexec_b64 vcc, s[34:35]
	s_xor_b64 s[40:41], exec, vcc
	s_cbranch_execz .LBB2_214
; %bb.200:                              ;   in Loop: Header=BB2_49 Depth=1
	s_and_saveexec_b64 s[44:45], s[14:15]
	s_cbranch_execz .LBB2_213
; %bb.201:                              ;   in Loop: Header=BB2_49 Depth=1
	s_mov_b64 s[48:49], exec
	v_mbcnt_lo_u32_b32 v0, s48, 0
	v_mbcnt_hi_u32_b32 v0, s49, v0
	v_cmp_eq_u32_e32 vcc, 0, v0
	s_waitcnt vmcnt(0) lgkmcnt(0)
	buffer_wbinvl1_vol
	s_and_saveexec_b64 s[46:47], vcc
	s_cbranch_execz .LBB2_203
; %bb.202:                              ;   in Loop: Header=BB2_49 Depth=1
	s_bcnt1_i32_b64 vcc_lo, s[48:49]
	v_mov_b32_e32 v12, vcc_lo
	v_mov_b32_e32 v13, v24
	ds_add_u64 v0, v[12:13]
	s_trap 2
.LBB2_203:                              ;   in Loop: Header=BB2_49 Depth=1
	s_or_b64 exec, exec, s[46:47]
	s_trap 2
	ds_read_b64 v[12:13], v0
	v_add_co_u32_e32 v36, vcc, v36, v52
	v_addc_co_u32_e32 v37, vcc, 0, v37, vcc
	s_waitcnt lgkmcnt(0)
	v_cmp_lt_u64_e32 vcc, v[12:13], v[36:37]
	s_and_saveexec_b64 s[46:47], vcc
	s_cbranch_execz .LBB2_212
; %bb.204:                              ;   in Loop: Header=BB2_49 Depth=1
	s_mov_b32 s58, 0
	s_mov_b64 s[48:49], 0
                                        ; implicit-def: $sgpr50_sgpr51
                                        ; implicit-def: $sgpr52_sgpr53
	s_branch .LBB2_206
.LBB2_205:                              ;   in Loop: Header=BB2_206 Depth=2
	s_or_b64 exec, exec, s[56:57]
	s_and_b64 vcc, exec, vcc
	s_or_b64 s[48:49], vcc, s[48:49]
	s_andn2_b64 vcc, s[50:51], exec
	s_and_b64 s[50:51], s[52:53], exec
	s_or_b64 s[50:51], vcc, s[50:51]
	s_andn2_b64 exec, exec, s[48:49]
	s_cbranch_execz .LBB2_210
.LBB2_206:                              ;   Parent Loop BB2_49 Depth=1
                                        ; =>  This Inner Loop Header: Depth=2
	s_add_i32 s58, s58, 1
	s_cmpk_lg_i32 s58, 0x2710
	s_cselect_b64 s[54:55], -1, 0
	s_and_b64 vcc, exec, s[54:55]
                                        ; implicit-def: $sgpr56_sgpr57
	s_cbranch_vccnz .LBB2_208
; %bb.207:                              ;   in Loop: Header=BB2_206 Depth=2
	s_trap 2
	ds_read_b64 v[12:13], v0
	s_andn2_b64 s[54:55], s[54:55], exec
	s_mov_b32 s58, 0
	s_mov_b64 s[56:57], -1
	s_waitcnt lgkmcnt(0)
	flat_load_dword v0, v[12:13] glc
	s_waitcnt vmcnt(0) lgkmcnt(0)
	buffer_invl2
	buffer_wbinvl1_vol
	v_cmp_eq_u32_e32 vcc, 0, v0
	s_and_b64 vcc, vcc, exec
	s_or_b64 s[54:55], s[54:55], vcc
.LBB2_208:                              ;   in Loop: Header=BB2_206 Depth=2
	s_andn2_b64 s[52:53], s[52:53], exec
	s_and_b64 s[56:57], s[56:57], exec
	s_mov_b64 vcc, -1
	s_or_b64 s[52:53], s[52:53], s[56:57]
	s_and_saveexec_b64 s[56:57], s[54:55]
	s_cbranch_execz .LBB2_205
; %bb.209:                              ;   in Loop: Header=BB2_206 Depth=2
	s_sleep 1
	s_trap 2
	ds_read_b64 v[12:13], v0
	s_andn2_b64 s[52:53], s[52:53], exec
	s_waitcnt lgkmcnt(0)
	v_cmp_ge_u64_e32 vcc, v[12:13], v[36:37]
	s_orn2_b64 vcc, vcc, exec
	s_branch .LBB2_205
.LBB2_210:                              ;   in Loop: Header=BB2_49 Depth=1
	s_or_b64 exec, exec, s[48:49]
	s_and_saveexec_b64 vcc, s[50:51]
	s_xor_b64 vcc, exec, vcc
	s_cbranch_execz .LBB2_212
; %bb.211:                              ;   in Loop: Header=BB2_49 Depth=1
	ds_write_b32 v0, v54
	s_trap 2
.LBB2_212:                              ;   in Loop: Header=BB2_49 Depth=1
	s_or_b64 exec, exec, s[46:47]
	;;#ASMSTART
	s_wakeup
	;;#ASMEND
.LBB2_213:                              ;   in Loop: Header=BB2_49 Depth=1
	s_or_b64 exec, exec, s[44:45]
.LBB2_214:                              ;   in Loop: Header=BB2_49 Depth=1
	s_andn2_saveexec_b64 vcc, s[40:41]
	s_cbranch_execz .LBB2_216
; %bb.215:                              ;   in Loop: Header=BB2_49 Depth=1
	s_waitcnt vmcnt(0) lgkmcnt(0)
	buffer_wbinvl1_vol
	s_barrier
.LBB2_216:                              ;   in Loop: Header=BB2_49 Depth=1
	s_or_b64 exec, exec, vcc
.LBB2_217:                              ;   in Loop: Header=BB2_49 Depth=1
	s_or_b64 exec, exec, s[22:23]
	s_trap 2
	ds_read_b32 v0, v0
	v_cmp_lt_i32_e32 vcc, 0, v10
	v_and_b32_e32 v10, 16, v2
	s_waitcnt lgkmcnt(0)
	v_readfirstlane_b32 s22, v0
	s_cmp_eq_u32 s22, 0
	s_cselect_b64 s[22:23], -1, 0
	s_and_b64 s[22:23], vcc, s[22:23]
	v_cmp_ne_u32_e32 vcc, 0, v10
	s_and_b64 vcc, vcc, s[22:23]
	s_and_saveexec_b64 s[22:23], vcc
	s_cbranch_execz .LBB2_219
; %bb.218:                              ;   in Loop: Header=BB2_49 Depth=1
	s_waitcnt vmcnt(0)
	buffer_wbinvl1_vol
.LBB2_219:                              ;   in Loop: Header=BB2_49 Depth=1
	s_or_b64 exec, exec, s[22:23]
	v_cmp_ne_u32_e32 vcc, 0, v10
	s_xor_b64 s[22:23], s[20:21], -1
	s_and_b64 vcc, vcc, s[22:23]
	s_and_saveexec_b64 s[22:23], vcc
	s_cbranch_execz .LBB2_221
; %bb.220:                              ;   in Loop: Header=BB2_49 Depth=1
	flat_store_dword v[60:61], v54
.LBB2_221:                              ;   in Loop: Header=BB2_49 Depth=1
	s_or_b64 exec, exec, s[22:23]
	v_and_b32_e32 v0, 48, v2
	v_cmp_ne_u32_e32 vcc, 0, v0
	s_and_saveexec_b64 s[22:23], vcc
	s_cbranch_execz .LBB2_47
; %bb.222:                              ;   in Loop: Header=BB2_49 Depth=1
	v_add_co_u32_e32 v8, vcc, 1, v8
	v_addc_co_u32_e32 v9, vcc, 0, v9, vcc
	flat_store_dwordx2 v[28:29], v[8:9]
	s_branch .LBB2_47
.LBB2_223:
	s_or_b64 exec, exec, s[36:37]
	v_accvgpr_read_b32 v27, a7
	v_accvgpr_read_b32 v62, a0
	;; [unrolled: 1-line block ×5, first 2 shown]
.LBB2_224:
	s_or_b64 exec, exec, s[30:31]
                                        ; implicit-def: $vgpr50_vgpr51
                                        ; implicit-def: $vgpr4_vgpr5
                                        ; implicit-def: $vgpr56
                                        ; implicit-def: $vgpr34_vgpr35
                                        ; implicit-def: $vgpr58_vgpr59
                                        ; implicit-def: $vgpr28_vgpr29
                                        ; implicit-def: $vgpr32
                                        ; implicit-def: $vgpr15
                                        ; implicit-def: $vgpr38_vgpr39
.LBB2_225:
	s_andn2_saveexec_b64 s[20:21], s[28:29]
	s_cbranch_execz .LBB2_394
; %bb.226:
	v_pk_mov_b32 v[36:37], 0, 0
	s_and_saveexec_b64 s[22:23], s[6:7]
	s_cbranch_execz .LBB2_393
; %bb.227:
	v_and_b32_e32 v3, 63, v31
	v_cmp_eq_u32_e64 s[12:13], 0, v3
	v_ashrrev_i32_e32 v3, 31, v32
	v_lshrrev_b32_e32 v3, 26, v3
	v_add_u32_e32 v3, v32, v3
	v_ashrrev_i32_e32 v57, 6, v3
	v_and_b32_e32 v3, 0xffffffc0, v3
	v_sub_u32_e32 v0, v32, v3
	v_lshlrev_b32_e32 v3, 11, v57
	v_lshrrev_b32_e32 v48, 6, v62
	v_cmp_le_i32_e64 s[14:15], v0, v15
	v_cmp_gt_i32_e64 s[16:17], 1, v0
	v_accvgpr_write_b32 a15, v0
	v_lshl_add_u32 v0, v0, 4, v3
	v_mov_b32_e32 v3, 0xfffff800
	v_lshl_add_u32 v3, v48, 11, v3
	s_movk_i32 s18, 0x800
	v_accvgpr_write_b32 a1, v31
	s_waitcnt vmcnt(0)
	v_ashrrev_i32_e32 v10, 31, v3
	v_add_co_u32_e64 v31, s[18:19], s18, v3
	v_addc_co_u32_e64 v55, s[18:19], 0, v10, s[18:19]
	s_waitcnt lgkmcnt(0)
	v_lshlrev_b32_e32 v61, 10, v48
	v_add_u32_e32 v3, 0xfffffc00, v61
	s_movk_i32 s18, 0x400
	v_ashrrev_i32_e32 v10, 31, v3
	v_add_co_u32_e64 v33, s[18:19], s18, v3
	v_accvgpr_write_b32 a16, v0
	v_ashrrev_i32_e32 v1, 31, v0
	v_addc_co_u32_e64 v0, s[18:19], 0, v10, s[18:19]
	v_mov_b32_e32 v3, 0xffffff00
	v_lshl_add_u32 v3, v48, 8, v3
	s_movk_i32 s18, 0x100
	v_ashrrev_i32_e32 v10, 31, v3
	v_add_co_u32_e64 v30, s[18:19], s18, v3
	v_addc_co_u32_e64 v49, s[18:19], 0, v10, s[18:19]
	v_lshlrev_b32_e32 v46, 7, v48
	s_lshr_b32 s6, s62, 27
	v_add_u32_e32 v3, 0xffffff80, v46
	s_movk_i32 s18, 0x80
	v_accvgpr_write_b32 a6, v26
	s_add_i32 s6, s62, s6
	v_cmp_eq_u32_e32 vcc, 64, v62
	v_ashrrev_i32_e32 v10, 31, v3
	v_add_co_u32_e64 v3, s[18:19], s18, v3
	v_pk_mov_b32 v[40:41], 0, 0
	v_accvgpr_write_b32 a7, v27
	s_ashr_i32 s58, s6, 5
	v_cmp_ge_i32_e64 s[6:7], v32, v62
	v_cmp_ne_u32_e64 s[10:11], 64, v62
	v_accvgpr_write_b32 a2, v25
	v_cmp_ne_u32_sdwa s[28:29], v25, v62 src0_sel:WORD_0 src1_sel:DWORD
	v_mov_b32_e32 v45, 0
	v_accvgpr_write_b32 a17, v1
	v_addc_co_u32_e64 v52, s[18:19], 0, v10, s[18:19]
	s_mov_b64 s[30:31], 0
	s_movk_i32 s59, 0x270e
	s_xor_b64 s[34:35], vcc, -1
	v_pk_mov_b32 v[36:37], v[40:41], v[40:41] op_sel:[0,1]
	v_accvgpr_write_b32 a19, v33
	v_accvgpr_write_b32 a20, v0
	v_accvgpr_write_b32 a21, v46
	s_trap 2
	s_branch .LBB2_230
.LBB2_228:                              ;   in Loop: Header=BB2_230 Depth=1
	s_or_b64 exec, exec, s[18:19]
.LBB2_229:                              ;   in Loop: Header=BB2_230 Depth=1
	s_or_b64 exec, exec, s[38:39]
	v_add_co_u32_e32 v40, vcc, v40, v38
	v_addc_co_u32_e32 v41, vcc, 0, v41, vcc
	v_cmp_ge_u64_e32 vcc, v[40:41], v[4:5]
	s_or_b64 s[30:31], vcc, s[30:31]
	s_andn2_b64 exec, exec, s[30:31]
	s_cbranch_execz .LBB2_392
.LBB2_230:                              ; =>This Loop Header: Depth=1
                                        ;     Child Loop BB2_241 Depth 2
                                        ;     Child Loop BB2_263 Depth 2
                                        ;     Child Loop BB2_282 Depth 2
                                        ;     Child Loop BB2_302 Depth 2
                                        ;     Child Loop BB2_307 Depth 2
                                        ;     Child Loop BB2_315 Depth 2
                                        ;     Child Loop BB2_320 Depth 2
                                        ;     Child Loop BB2_330 Depth 2
                                        ;     Child Loop BB2_355 Depth 2
                                        ;     Child Loop BB2_377 Depth 2
	v_sub_co_u32_e32 v10, vcc, v4, v40
	v_subb_co_u32_e32 v11, vcc, v5, v41, vcc
	v_cmp_lt_u64_e32 vcc, v[38:39], v[10:11]
	v_cndmask_b32_e64 v43, v11, 0, vcc
	v_cndmask_b32_e32 v42, v10, v38, vcc
	v_add_u32_e32 v10, 15, v42
	v_cmp_eq_u64_e32 vcc, 0, v[42:43]
	v_and_b32_e32 v10, 0x3ffffff0, v10
	s_or_b64 s[36:37], s[6:7], vcc
	v_max_i32_e32 v53, s58, v10
	s_xor_b64 s[18:19], s[36:37], -1
	v_mov_b32_e32 v14, 0
	s_and_saveexec_b64 s[38:39], s[18:19]
	s_cbranch_execz .LBB2_346
; %bb.231:                              ;   in Loop: Header=BB2_230 Depth=1
	s_and_saveexec_b64 s[18:19], s[4:5]
	s_cbranch_execz .LBB2_233
; %bb.232:                              ;   in Loop: Header=BB2_230 Depth=1
	s_trap 2
	ds_read2_b64 v[10:13], v0 offset1:1
	ds_read_b64 v[16:17], v0
	v_add_co_u32_e32 v14, vcc, v40, v50
	v_addc_co_u32_e32 v15, vcc, v41, v51, vcc
	v_lshlrev_b64 v[14:15], 1, v[14:15]
	s_waitcnt lgkmcnt(0)
	v_add_co_u32_e32 v10, vcc, v10, v14
	v_addc_co_u32_e32 v11, vcc, v11, v15, vcc
	ds_write_b64 v0, v[10:11]
	v_add_co_u32_e32 v10, vcc, v12, v14
	v_addc_co_u32_e32 v11, vcc, v13, v15, vcc
	ds_write_b64 v0, v[10:11]
	s_waitcnt lgkmcnt(2)
	v_add_co_u32_e32 v10, vcc, v16, v14
	v_addc_co_u32_e32 v11, vcc, v17, v15, vcc
	v_cmp_ne_u64_e32 vcc, 0, v[16:17]
	v_cndmask_b32_e32 v11, 0, v11, vcc
	v_cndmask_b32_e32 v10, 0, v10, vcc
	ds_write_b64 v0, v[10:11]
.LBB2_233:                              ;   in Loop: Header=BB2_230 Depth=1
	s_or_b64 exec, exec, s[18:19]
	v_and_b32_e32 v10, 4, v2
	v_cmp_ne_u32_e32 vcc, 0, v10
	s_mov_b64 s[40:41], -1
	s_and_saveexec_b64 s[18:19], vcc
	s_cbranch_execnz .LBB2_236
; %bb.234:                              ;   in Loop: Header=BB2_230 Depth=1
	s_or_b64 exec, exec, s[18:19]
	s_xor_b64 s[18:19], s[40:41], -1
	s_and_saveexec_b64 s[40:41], s[18:19]
	s_cbranch_execnz .LBB2_247
.LBB2_235:                              ;   in Loop: Header=BB2_230 Depth=1
	s_or_b64 exec, exec, s[40:41]
	s_and_saveexec_b64 s[18:19], s[10:11]
	s_cbranch_execnz .LBB2_256
	s_branch .LBB2_274
.LBB2_236:                              ;   in Loop: Header=BB2_230 Depth=1
	v_add_co_u32_e32 v10, vcc, 1, v8
	v_addc_co_u32_e32 v11, vcc, 0, v9, vcc
	v_cmp_lt_u64_e32 vcc, v[34:35], v[10:11]
	v_mov_b32_e32 v12, 1
	s_and_saveexec_b64 s[40:41], vcc
	s_cbranch_execz .LBB2_246
; %bb.237:                              ;   in Loop: Header=BB2_230 Depth=1
	s_mov_b64 s[42:43], 0
	v_mov_b32_e32 v12, 0
                                        ; implicit-def: $sgpr44_sgpr45
	s_branch .LBB2_241
.LBB2_238:                              ;   in Loop: Header=BB2_241 Depth=2
	s_or_b64 exec, exec, s[52:53]
	v_mov_b32_e32 v13, 0
	s_orn2_b64 s[50:51], s[50:51], exec
.LBB2_239:                              ;   in Loop: Header=BB2_241 Depth=2
	s_or_b64 exec, exec, s[48:49]
	s_andn2_b64 vcc, s[44:45], exec
	s_and_b64 s[44:45], s[50:51], exec
	s_or_b64 s[44:45], vcc, s[44:45]
	v_mov_b32_e32 v12, v13
.LBB2_240:                              ;   in Loop: Header=BB2_241 Depth=2
	s_or_b64 exec, exec, s[46:47]
	s_waitcnt vmcnt(0) lgkmcnt(0)
	v_cmp_ge_u64_e32 vcc, v[34:35], v[10:11]
	s_xor_b64 s[46:47], s[44:45], -1
	s_or_b64 vcc, s[46:47], vcc
	s_and_b64 vcc, exec, vcc
	s_or_b64 s[42:43], vcc, s[42:43]
	s_andn2_b64 exec, exec, s[42:43]
	s_cbranch_execz .LBB2_245
.LBB2_241:                              ;   Parent Loop BB2_230 Depth=1
                                        ; =>  This Inner Loop Header: Depth=2
	s_sleep 1
	flat_load_dwordx2 v[34:35], v[28:29] glc
	v_and_b32_e32 v13, 64, v2
	v_cmp_eq_u32_e32 vcc, 0, v13
	s_andn2_b64 s[44:45], s[44:45], exec
	s_and_saveexec_b64 s[46:47], vcc
	s_cbranch_execz .LBB2_240
; %bb.242:                              ;   in Loop: Header=BB2_241 Depth=2
	v_add_u32_e32 v13, 1, v12
	v_cmp_lt_i32_e32 vcc, s59, v12
	s_mov_b64 s[50:51], -1
	s_and_saveexec_b64 s[48:49], vcc
	s_cbranch_execz .LBB2_239
; %bb.243:                              ;   in Loop: Header=BB2_241 Depth=2
	s_trap 2
	ds_read_b64 v[12:13], v0
	s_waitcnt vmcnt(0) lgkmcnt(0)
	flat_load_dword v12, v[12:13] glc
	s_waitcnt vmcnt(0) lgkmcnt(0)
	buffer_invl2
	buffer_wbinvl1_vol
	v_cmp_ne_u32_e32 vcc, 0, v12
	s_and_saveexec_b64 s[52:53], vcc
	s_cbranch_execz .LBB2_238
; %bb.244:                              ;   in Loop: Header=BB2_241 Depth=2
	v_or_b32_e32 v2, 64, v2
	s_xor_b64 s[50:51], exec, -1
	ds_write_b32 v0, v12
	s_trap 2
	s_branch .LBB2_238
.LBB2_245:                              ;   in Loop: Header=BB2_230 Depth=1
	s_or_b64 exec, exec, s[42:43]
	v_and_b32_e32 v12, 4, v2
.LBB2_246:                              ;   in Loop: Header=BB2_230 Depth=1
	s_or_b64 exec, exec, s[40:41]
	v_cmp_eq_u32_e32 vcc, 0, v12
	s_orn2_b64 s[40:41], vcc, exec
	;;#ASMSTART
	s_wakeup
	;;#ASMEND
	s_or_b64 exec, exec, s[18:19]
	s_xor_b64 s[18:19], s[40:41], -1
	s_and_saveexec_b64 s[40:41], s[18:19]
	s_cbranch_execz .LBB2_235
.LBB2_247:                              ;   in Loop: Header=BB2_230 Depth=1
	v_and_b32_e32 v10, 0x100, v2
	v_cmp_ne_u32_e32 vcc, 0, v10
	v_and_b32_e32 v14, 7, v8
	s_mov_b64 s[18:19], -1
                                        ; implicit-def: $vgpr10_vgpr11
	s_and_saveexec_b64 s[42:43], vcc
	s_cbranch_execz .LBB2_251
; %bb.248:                              ;   in Loop: Header=BB2_230 Depth=1
	v_mad_u64_u32 v[12:13], s[18:19], v14, 24, v[6:7]
	flat_load_dword v10, v[12:13]
	s_waitcnt vmcnt(0) lgkmcnt(0)
	v_cmp_ne_u32_e32 vcc, 1, v10
	v_cmp_eq_u32_e64 s[18:19], 1, v10
                                        ; implicit-def: $vgpr10_vgpr11
	s_and_saveexec_b64 s[44:45], s[18:19]
	s_cbranch_execz .LBB2_250
; %bb.249:                              ;   in Loop: Header=BB2_230 Depth=1
	flat_load_dword v10, v[12:13] offset:4 glc
	s_waitcnt vmcnt(0) lgkmcnt(0)
	v_ashrrev_i32_e32 v11, 31, v10
	v_lshrrev_b64 v[10:11], 1, v[10:11]
.LBB2_250:                              ;   in Loop: Header=BB2_230 Depth=1
	s_or_b64 exec, exec, s[44:45]
	s_orn2_b64 s[18:19], vcc, exec
.LBB2_251:                              ;   in Loop: Header=BB2_230 Depth=1
	s_or_b64 exec, exec, s[42:43]
	s_and_saveexec_b64 vcc, s[18:19]
; %bb.252:                              ;   in Loop: Header=BB2_230 Depth=1
	v_mad_i64_i32 v[10:11], s[18:19], v14, v56, 0
; %bb.253:                              ;   in Loop: Header=BB2_230 Depth=1
	s_or_b64 exec, exec, vcc
	v_lshlrev_b64 v[10:11], 1, v[10:11]
	v_add_co_u32_e32 v10, vcc, v58, v10
	v_addc_co_u32_e32 v11, vcc, v59, v11, vcc
	ds_write_b64 v0, v[10:11] offset:728
	v_and_b32_e32 v10, 0x2000, v2
	v_cmp_ne_u32_e32 vcc, 0, v10
	s_and_saveexec_b64 s[18:19], vcc
	s_cbranch_execz .LBB2_255
; %bb.254:                              ;   in Loop: Header=BB2_230 Depth=1
	ds_read_b64 v[10:11], v0 offset:584
	s_waitcnt lgkmcnt(0)
	v_add_co_u32_e32 v10, vcc, 1, v10
	v_addc_co_u32_e32 v11, vcc, 0, v11, vcc
	ds_write_b64 v0, v[10:11] offset:584
.LBB2_255:                              ;   in Loop: Header=BB2_230 Depth=1
	s_or_b64 exec, exec, s[18:19]
	v_add_co_u32_e32 v8, vcc, 1, v8
	v_addc_co_u32_e32 v9, vcc, 0, v9, vcc
	s_or_b64 exec, exec, s[40:41]
	s_and_saveexec_b64 s[18:19], s[10:11]
	s_cbranch_execz .LBB2_274
.LBB2_256:                              ;   in Loop: Header=BB2_230 Depth=1
	s_and_saveexec_b64 vcc, s[28:29]
	s_xor_b64 s[40:41], exec, vcc
	s_cbranch_execz .LBB2_271
; %bb.257:                              ;   in Loop: Header=BB2_230 Depth=1
	s_and_saveexec_b64 s[42:43], s[12:13]
	s_cbranch_execz .LBB2_270
; %bb.258:                              ;   in Loop: Header=BB2_230 Depth=1
	s_mov_b64 s[46:47], exec
	v_mbcnt_lo_u32_b32 v10, s46, 0
	v_mbcnt_hi_u32_b32 v10, s47, v10
	v_cmp_eq_u32_e32 vcc, 0, v10
	s_waitcnt vmcnt(0) lgkmcnt(0)
	buffer_wbinvl1_vol
	s_and_saveexec_b64 s[44:45], vcc
	s_cbranch_execz .LBB2_260
; %bb.259:                              ;   in Loop: Header=BB2_230 Depth=1
	s_bcnt1_i32_b64 vcc_lo, s[46:47]
	v_mov_b32_e32 v44, vcc_lo
	ds_add_u64 v0, v[44:45]
	s_trap 2
.LBB2_260:                              ;   in Loop: Header=BB2_230 Depth=1
	s_or_b64 exec, exec, s[44:45]
	s_trap 2
	ds_read_b64 v[10:11], v0
	v_add_co_u32_e32 v36, vcc, v36, v48
	v_addc_co_u32_e32 v37, vcc, 0, v37, vcc
	s_waitcnt lgkmcnt(0)
	v_cmp_lt_u64_e32 vcc, v[10:11], v[36:37]
	s_and_saveexec_b64 s[44:45], vcc
	s_cbranch_execz .LBB2_269
; %bb.261:                              ;   in Loop: Header=BB2_230 Depth=1
	s_mov_b32 s56, 0
	s_mov_b64 s[46:47], 0
                                        ; implicit-def: $sgpr48_sgpr49
                                        ; implicit-def: $sgpr50_sgpr51
	s_branch .LBB2_263
.LBB2_262:                              ;   in Loop: Header=BB2_263 Depth=2
	s_or_b64 exec, exec, s[54:55]
	s_and_b64 vcc, exec, vcc
	s_or_b64 s[46:47], vcc, s[46:47]
	s_andn2_b64 vcc, s[48:49], exec
	s_and_b64 s[48:49], s[50:51], exec
	s_or_b64 s[48:49], vcc, s[48:49]
	s_andn2_b64 exec, exec, s[46:47]
	s_cbranch_execz .LBB2_267
.LBB2_263:                              ;   Parent Loop BB2_230 Depth=1
                                        ; =>  This Inner Loop Header: Depth=2
	s_add_i32 s56, s56, 1
	s_cmpk_lg_i32 s56, 0x2710
	s_cselect_b64 s[52:53], -1, 0
	s_and_b64 vcc, exec, s[52:53]
                                        ; implicit-def: $sgpr54_sgpr55
	s_cbranch_vccnz .LBB2_265
; %bb.264:                              ;   in Loop: Header=BB2_263 Depth=2
	s_trap 2
	ds_read_b64 v[10:11], v0
	s_andn2_b64 s[52:53], s[52:53], exec
	s_mov_b32 s56, 0
	s_mov_b64 s[54:55], -1
	s_waitcnt lgkmcnt(0)
	flat_load_dword v10, v[10:11] glc
	s_waitcnt vmcnt(0) lgkmcnt(0)
	buffer_invl2
	buffer_wbinvl1_vol
	v_cmp_eq_u32_e32 vcc, 0, v10
	s_and_b64 vcc, vcc, exec
	s_or_b64 s[52:53], s[52:53], vcc
.LBB2_265:                              ;   in Loop: Header=BB2_263 Depth=2
	s_andn2_b64 s[50:51], s[50:51], exec
	s_and_b64 s[54:55], s[54:55], exec
	s_mov_b64 vcc, -1
	s_or_b64 s[50:51], s[50:51], s[54:55]
	s_and_saveexec_b64 s[54:55], s[52:53]
	s_cbranch_execz .LBB2_262
; %bb.266:                              ;   in Loop: Header=BB2_263 Depth=2
	s_sleep 1
	s_trap 2
	ds_read_b64 v[10:11], v0
	s_andn2_b64 s[50:51], s[50:51], exec
	s_waitcnt lgkmcnt(0)
	v_cmp_ge_u64_e32 vcc, v[10:11], v[36:37]
	s_orn2_b64 vcc, vcc, exec
	s_branch .LBB2_262
.LBB2_267:                              ;   in Loop: Header=BB2_230 Depth=1
	s_or_b64 exec, exec, s[46:47]
	s_and_saveexec_b64 vcc, s[48:49]
	s_xor_b64 vcc, exec, vcc
	s_cbranch_execz .LBB2_269
; %bb.268:                              ;   in Loop: Header=BB2_230 Depth=1
	v_mov_b32_e32 v0, 1
	ds_write_b32 v0, v0
	s_trap 2
.LBB2_269:                              ;   in Loop: Header=BB2_230 Depth=1
	s_or_b64 exec, exec, s[44:45]
	;;#ASMSTART
	s_wakeup
	;;#ASMEND
.LBB2_270:                              ;   in Loop: Header=BB2_230 Depth=1
	s_or_b64 exec, exec, s[42:43]
.LBB2_271:                              ;   in Loop: Header=BB2_230 Depth=1
	s_andn2_saveexec_b64 vcc, s[40:41]
	s_cbranch_execz .LBB2_273
; %bb.272:                              ;   in Loop: Header=BB2_230 Depth=1
	s_waitcnt vmcnt(0) lgkmcnt(0)
	buffer_wbinvl1_vol
	s_barrier
.LBB2_273:                              ;   in Loop: Header=BB2_230 Depth=1
	s_or_b64 exec, exec, vcc
.LBB2_274:                              ;   in Loop: Header=BB2_230 Depth=1
	s_or_b64 exec, exec, s[18:19]
	s_trap 2
	ds_read_b32 v10, v0
	v_and_b32_e32 v11, 0x4000, v2
	v_cmp_ne_u32_e32 vcc, 0, v11
	s_and_b64 vcc, s[34:35], vcc
	s_and_saveexec_b64 s[18:19], vcc
	s_cbranch_execz .LBB2_293
; %bb.275:                              ;   in Loop: Header=BB2_230 Depth=1
	s_and_saveexec_b64 vcc, s[28:29]
	s_xor_b64 s[40:41], exec, vcc
	s_cbranch_execz .LBB2_290
; %bb.276:                              ;   in Loop: Header=BB2_230 Depth=1
	s_and_saveexec_b64 s[42:43], s[12:13]
	s_cbranch_execz .LBB2_289
; %bb.277:                              ;   in Loop: Header=BB2_230 Depth=1
	s_mov_b64 s[46:47], exec
	v_mbcnt_lo_u32_b32 v11, s46, 0
	v_mbcnt_hi_u32_b32 v11, s47, v11
	v_cmp_eq_u32_e32 vcc, 0, v11
	s_waitcnt vmcnt(0) lgkmcnt(0)
	buffer_wbinvl1_vol
	s_and_saveexec_b64 s[44:45], vcc
	s_cbranch_execz .LBB2_279
; %bb.278:                              ;   in Loop: Header=BB2_230 Depth=1
	s_bcnt1_i32_b64 vcc_lo, s[46:47]
	v_mov_b32_e32 v44, vcc_lo
	ds_add_u64 v0, v[44:45]
	s_trap 2
.LBB2_279:                              ;   in Loop: Header=BB2_230 Depth=1
	s_or_b64 exec, exec, s[44:45]
	s_trap 2
	ds_read_b64 v[12:13], v0
	v_add_co_u32_e32 v36, vcc, v36, v48
	v_addc_co_u32_e32 v37, vcc, 0, v37, vcc
	s_waitcnt lgkmcnt(0)
	v_cmp_lt_u64_e32 vcc, v[12:13], v[36:37]
	s_and_saveexec_b64 s[44:45], vcc
	s_cbranch_execz .LBB2_288
; %bb.280:                              ;   in Loop: Header=BB2_230 Depth=1
	s_mov_b32 s56, 0
	s_mov_b64 s[46:47], 0
                                        ; implicit-def: $sgpr48_sgpr49
                                        ; implicit-def: $sgpr50_sgpr51
	s_branch .LBB2_282
.LBB2_281:                              ;   in Loop: Header=BB2_282 Depth=2
	s_or_b64 exec, exec, s[54:55]
	s_and_b64 vcc, exec, vcc
	s_or_b64 s[46:47], vcc, s[46:47]
	s_andn2_b64 vcc, s[48:49], exec
	s_and_b64 s[48:49], s[50:51], exec
	s_or_b64 s[48:49], vcc, s[48:49]
	s_andn2_b64 exec, exec, s[46:47]
	s_cbranch_execz .LBB2_286
.LBB2_282:                              ;   Parent Loop BB2_230 Depth=1
                                        ; =>  This Inner Loop Header: Depth=2
	s_add_i32 s56, s56, 1
	s_cmpk_lg_i32 s56, 0x2710
	s_cselect_b64 s[52:53], -1, 0
	s_and_b64 vcc, exec, s[52:53]
                                        ; implicit-def: $sgpr54_sgpr55
	s_cbranch_vccnz .LBB2_284
; %bb.283:                              ;   in Loop: Header=BB2_282 Depth=2
	s_trap 2
	ds_read_b64 v[12:13], v0
	s_andn2_b64 s[52:53], s[52:53], exec
	s_mov_b32 s56, 0
	s_mov_b64 s[54:55], -1
	s_waitcnt lgkmcnt(0)
	flat_load_dword v11, v[12:13] glc
	s_waitcnt vmcnt(0) lgkmcnt(0)
	buffer_invl2
	buffer_wbinvl1_vol
	v_cmp_eq_u32_e32 vcc, 0, v11
	s_and_b64 vcc, vcc, exec
	s_or_b64 s[52:53], s[52:53], vcc
.LBB2_284:                              ;   in Loop: Header=BB2_282 Depth=2
	s_andn2_b64 s[50:51], s[50:51], exec
	s_and_b64 s[54:55], s[54:55], exec
	s_mov_b64 vcc, -1
	s_or_b64 s[50:51], s[50:51], s[54:55]
	s_and_saveexec_b64 s[54:55], s[52:53]
	s_cbranch_execz .LBB2_281
; %bb.285:                              ;   in Loop: Header=BB2_282 Depth=2
	s_sleep 1
	s_trap 2
	ds_read_b64 v[12:13], v0
	s_andn2_b64 s[50:51], s[50:51], exec
	s_waitcnt lgkmcnt(0)
	v_cmp_ge_u64_e32 vcc, v[12:13], v[36:37]
	s_orn2_b64 vcc, vcc, exec
	s_branch .LBB2_281
.LBB2_286:                              ;   in Loop: Header=BB2_230 Depth=1
	s_or_b64 exec, exec, s[46:47]
	s_and_saveexec_b64 vcc, s[48:49]
	s_xor_b64 vcc, exec, vcc
	s_cbranch_execz .LBB2_288
; %bb.287:                              ;   in Loop: Header=BB2_230 Depth=1
	v_mov_b32_e32 v0, 1
	ds_write_b32 v0, v0
	s_trap 2
.LBB2_288:                              ;   in Loop: Header=BB2_230 Depth=1
	s_or_b64 exec, exec, s[44:45]
	;;#ASMSTART
	s_wakeup
	;;#ASMEND
.LBB2_289:                              ;   in Loop: Header=BB2_230 Depth=1
	s_or_b64 exec, exec, s[42:43]
.LBB2_290:                              ;   in Loop: Header=BB2_230 Depth=1
	s_andn2_saveexec_b64 vcc, s[40:41]
	s_cbranch_execz .LBB2_292
; %bb.291:                              ;   in Loop: Header=BB2_230 Depth=1
	s_waitcnt vmcnt(0) lgkmcnt(0)
	buffer_wbinvl1_vol
	s_barrier
.LBB2_292:                              ;   in Loop: Header=BB2_230 Depth=1
	s_or_b64 exec, exec, vcc
.LBB2_293:                              ;   in Loop: Header=BB2_230 Depth=1
	s_or_b64 exec, exec, s[18:19]
	s_trap 2
	ds_read_b64 v[12:13], v0
	v_min_u32_e32 v53, v53, v42
	s_waitcnt lgkmcnt(0)
	v_readfirstlane_b32 s18, v12
	v_readfirstlane_b32 s19, v13
	s_cmp_eq_u64 s[18:19], 0
	s_cselect_b64 s[18:19], -1, 0
	s_or_b64 vcc, s[18:19], s[18:19]
	s_mov_b64 s[18:19], 0
	s_and_b64 vcc, exec, vcc
	s_cbranch_vccnz .LBB2_322
; %bb.294:                              ;   in Loop: Header=BB2_230 Depth=1
	s_mov_b64 s[18:19], -1
	s_and_saveexec_b64 s[40:41], s[14:15]
	s_cbranch_execz .LBB2_296
; %bb.295:                              ;   in Loop: Header=BB2_230 Depth=1
	ds_read_b32 v11, v0 offset:720
	s_waitcnt lgkmcnt(0)
	v_and_b32_e32 v11, 15, v11
	v_cmp_eq_u32_e32 vcc, 0, v11
	s_orn2_b64 s[18:19], vcc, exec
.LBB2_296:                              ;   in Loop: Header=BB2_230 Depth=1
	s_or_b64 exec, exec, s[40:41]
	s_and_saveexec_b64 s[40:41], s[16:17]
	s_cbranch_execz .LBB2_298
; %bb.297:                              ;   in Loop: Header=BB2_230 Depth=1
	ds_read_b32 v11, v0 offset:784
	s_waitcnt lgkmcnt(0)
	v_and_b32_e32 v11, 15, v11
	v_cmp_eq_u32_e32 vcc, 0, v11
	s_and_b64 vcc, s[18:19], vcc
	s_andn2_b64 s[18:19], s[18:19], exec
	s_and_b64 vcc, vcc, exec
	s_or_b64 s[18:19], s[18:19], vcc
.LBB2_298:                              ;   in Loop: Header=BB2_230 Depth=1
	s_or_b64 exec, exec, s[40:41]
	v_cmp_eq_u32_e32 vcc, 0, v10
	s_xor_b64 s[18:19], s[18:19], -1
	v_cndmask_b32_e32 v43, 0, v53, vcc
	v_cndmask_b32_e64 v10, 0, 1, s[18:19]
	v_mov_b32_e32 v18, 0
	v_lshlrev_b32_e32 v60, 1, v43
	s_mov_b64 s[42:43], -1
	;;#ASMSTART
	;;#ASMEND
	v_cmp_ne_u32_e32 vcc, 0, v10
	s_cbranch_vccz .LBB2_300
; %bb.299:                              ;   in Loop: Header=BB2_230 Depth=1
	v_mov_b32_e32 v19, v32
	v_mov_b32_e32 v10, v57
	s_and_saveexec_b64 s[18:19], s[42:43]
	s_cbranch_execnz .LBB2_313
	s_branch .LBB2_321
.LBB2_300:                              ;   in Loop: Header=BB2_230 Depth=1
	v_lshrrev_b32_e32 v0, 10, v43
	v_sub_u32_e32 v54, v0, v57
	v_cmp_lt_i32_e32 vcc, 0, v54
	s_and_saveexec_b64 s[18:19], vcc
	s_cbranch_execz .LBB2_304
; %bb.301:                              ;   in Loop: Header=BB2_230 Depth=1
	v_accvgpr_write_b32 a9, v45
	s_trap 2
	ds_read_b128 v[10:13], v0
	ds_read_b64 v[44:45], v0
	v_accvgpr_write_b32 a23, v0
	v_accvgpr_read_b32 v0, a16
	v_accvgpr_read_b32 v1, a17
	s_waitcnt lgkmcnt(0)
	v_add_co_u32_e32 v46, vcc, v10, v0
	v_addc_co_u32_e32 v47, vcc, v11, v1, vcc
	v_accvgpr_write_b32 a8, v56
	v_add_co_u32_e32 v56, vcc, v12, v0
	v_accvgpr_write_b32 a14, v57
	v_accvgpr_write_b32 a10, v58
	v_addc_co_u32_e32 v57, vcc, v13, v1, vcc
	v_accvgpr_write_b32 a12, v50
	v_accvgpr_write_b32 a11, v59
	s_waitcnt lgkmcnt(0)
	v_add_co_u32_e32 v58, vcc, v44, v0
	v_accvgpr_write_b32 a22, v43
	v_accvgpr_write_b32 a18, v61
	;; [unrolled: 1-line block ×5, first 2 shown]
	v_addc_co_u32_e32 v59, vcc, v45, v1, vcc
	s_mov_b64 s[40:41], 0
.LBB2_302:                              ;   Parent Loop BB2_230 Depth=1
                                        ; =>  This Inner Loop Header: Depth=2
	global_load_dwordx4 v[14:17], v[46:47], off glc slc
	global_load_dwordx4 v[10:13], v[46:47], off offset:1024 glc slc
	global_load_dwordx4 v[22:25], v[56:57], off glc slc
	global_load_dwordx4 v[18:21], v[56:57], off offset:1024 glc slc
	v_add_co_u32_e32 v46, vcc, v46, v31
	v_addc_co_u32_e32 v47, vcc, v47, v55, vcc
	v_add_co_u32_e32 v56, vcc, v56, v31
	v_addc_co_u32_e32 v57, vcc, v57, v55, vcc
	v_sub_u32_e32 v54, v54, v48
	v_cmp_gt_i32_e32 vcc, 1, v54
	s_or_b64 s[40:41], vcc, s[40:41]
	s_waitcnt vmcnt(0)
	v_lshrrev_b32_e32 v27, 16, v14
	v_lshrrev_b32_e32 v45, 16, v15
	;; [unrolled: 1-line block ×4, first 2 shown]
	s_waitcnt vmcnt(1)
	v_lshrrev_b32_e32 v43, 16, v22
	v_lshrrev_b32_e32 v26, 16, v23
	;; [unrolled: 1-line block ×8, first 2 shown]
	v_fma_f16 v14, v44, v14, v22
	v_fma_f16 v15, v44, v15, v23
	;; [unrolled: 1-line block ×4, first 2 shown]
	s_waitcnt vmcnt(0)
	v_lshrrev_b32_e32 v22, 16, v18
	v_lshrrev_b32_e32 v23, 16, v19
	;; [unrolled: 1-line block ×4, first 2 shown]
	v_fma_f16 v10, v44, v10, v18
	v_fma_f16 v18, v44, v11, v19
	;; [unrolled: 1-line block ×8, first 2 shown]
	v_and_b32_e32 v14, 0xffff, v14
	v_and_b32_e32 v16, 0xffff, v16
	v_fma_f16 v0, v44, v0, v22
	v_fma_f16 v1, v44, v1, v23
	v_and_b32_e32 v22, 0xffff, v10
	v_fma_f16 v10, v44, v32, v24
	v_fma_f16 v23, v44, v33, v25
	v_and_b32_e32 v24, 0xffff, v11
	v_lshlrev_b32_e32 v11, 16, v13
	v_lshlrev_b32_e32 v12, 16, v12
	;; [unrolled: 1-line block ×8, first 2 shown]
	v_or_b32_sdwa v11, v11, v15 dst_sel:DWORD dst_unused:UNUSED_PAD src0_sel:DWORD src1_sel:WORD_0
	v_or_b32_e32 v10, v12, v14
	v_or_b32_sdwa v13, v13, v17 dst_sel:DWORD dst_unused:UNUSED_PAD src0_sel:DWORD src1_sel:WORD_0
	v_or_b32_e32 v12, v20, v16
	;; [unrolled: 2-line block ×4, first 2 shown]
	global_store_dwordx4 v[58:59], v[10:13], off glc slc
	global_store_dwordx4 v[58:59], v[14:17], off offset:1024 glc slc
	v_add_co_u32_e32 v58, vcc, v58, v31
	v_addc_co_u32_e32 v59, vcc, v59, v55, vcc
	s_andn2_b64 exec, exec, s[40:41]
	s_cbranch_execnz .LBB2_302
; %bb.303:                              ;   in Loop: Header=BB2_230 Depth=1
	s_or_b64 exec, exec, s[40:41]
	v_accvgpr_read_b32 v59, a11
	v_accvgpr_read_b32 v51, a13
	;; [unrolled: 1-line block ×14, first 2 shown]
.LBB2_304:                              ;   in Loop: Header=BB2_230 Depth=1
	s_or_b64 exec, exec, s[18:19]
	v_lshlrev_b32_e32 v22, 11, v0
	v_cmp_ne_u32_e32 vcc, v60, v22
	s_mov_b64 s[42:43], 0
	v_mov_b32_e32 v18, 0
                                        ; implicit-def: $vgpr19
                                        ; implicit-def: $vgpr10
	s_and_saveexec_b64 s[40:41], vcc
	s_cbranch_execz .LBB2_312
; %bb.305:                              ;   in Loop: Header=BB2_230 Depth=1
	v_lshlrev_b32_e32 v1, 6, v54
	v_accvgpr_read_b32 v10, a15
	v_sub_u32_e32 v1, v10, v1
	v_ashrrev_i32_e32 v10, 31, v1
	v_lshrrev_b32_e32 v10, 26, v10
	v_add_u32_e32 v10, v1, v10
	v_ashrrev_i32_e32 v11, 6, v10
	v_and_b32_e32 v10, 0xffffffc0, v10
	v_sub_u32_e32 v23, v1, v10
	v_sub_u32_e32 v0, v60, v22
	v_lshlrev_b32_e32 v1, 4, v23
	v_lshl_add_u32 v10, v11, 10, v1
	v_ashrrev_i32_e32 v1, 31, v0
	v_lshrrev_b32_e32 v1, 22, v1
	v_add_u32_e32 v1, v0, v1
	v_and_b32_e32 v24, 0xfffffc00, v1
	v_sub_u32_e32 v26, v0, v24
	v_ashrrev_i32_e32 v12, 10, v1
	v_cmp_lt_i32_e32 vcc, 15, v26
	v_sub_u32_e32 v27, v0, v10
	v_addc_co_u32_e64 v0, s[18:19], 0, v12, vcc
	v_sub_u32_e32 v25, v0, v11
	v_cmp_lt_i32_e64 s[18:19], 15, v27
	s_and_saveexec_b64 s[42:43], s[18:19]
	s_cbranch_execz .LBB2_309
; %bb.306:                              ;   in Loop: Header=BB2_230 Depth=1
	s_trap 2
	ds_read_b128 v[16:19], v0
	v_add_u32_e32 v0, v10, v22
	ds_read_b64 v[14:15], v0
	v_ashrrev_i32_e32 v1, 31, v0
	v_accvgpr_write_b32 a8, v50
	s_waitcnt lgkmcnt(0)
	v_add_co_u32_e64 v16, s[18:19], v16, v0
	v_addc_co_u32_e64 v17, s[18:19], v17, v1, s[18:19]
	v_add_co_u32_e64 v18, s[18:19], v18, v0
	v_addc_co_u32_e64 v19, s[18:19], v19, v1, s[18:19]
	s_waitcnt lgkmcnt(0)
	v_add_co_u32_e64 v20, s[18:19], v14, v0
	v_accvgpr_write_b32 a10, v43
	v_accvgpr_write_b32 a3, v45
	;; [unrolled: 1-line block ×4, first 2 shown]
	v_addc_co_u32_e64 v21, s[18:19], v15, v1, s[18:19]
	s_mov_b64 s[44:45], 0
	v_accvgpr_read_b32 v43, a20
.LBB2_307:                              ;   Parent Loop BB2_230 Depth=1
                                        ; =>  This Inner Loop Header: Depth=2
	global_load_dwordx4 v[10:13], v[16:17], off glc slc
	global_load_dwordx4 v[44:47], v[18:19], off glc slc
	v_add_co_u32_e64 v16, s[18:19], v16, v33
	v_addc_co_u32_e64 v17, s[18:19], v17, v43, s[18:19]
	v_add_co_u32_e64 v18, s[18:19], v18, v33
	v_addc_co_u32_e64 v19, s[18:19], v19, v43, s[18:19]
	v_sub_u32_e32 v27, v27, v61
	v_cmp_gt_i32_e64 s[18:19], 16, v27
	s_or_b64 s[44:45], s[18:19], s[44:45]
	v_sub_u32_e32 v25, v25, v48
	s_waitcnt vmcnt(0)
	v_lshrrev_b32_e32 v0, 16, v10
	v_lshrrev_b32_e32 v1, 16, v11
	;; [unrolled: 1-line block ×4, first 2 shown]
	s_waitcnt vmcnt(0)
	v_lshrrev_b32_e32 v33, 16, v44
	v_lshrrev_b32_e32 v50, 16, v45
	;; [unrolled: 1-line block ×4, first 2 shown]
	v_fma_f16 v10, v14, v10, v44
	v_fma_f16 v12, v14, v12, v46
	;; [unrolled: 1-line block ×8, first 2 shown]
	v_and_b32_e32 v10, 0xffff, v10
	v_and_b32_e32 v12, 0xffff, v12
	v_lshlrev_b32_e32 v1, 16, v1
	v_lshlrev_b32_e32 v0, 16, v0
	;; [unrolled: 1-line block ×4, first 2 shown]
	v_accvgpr_read_b32 v33, a19
	v_or_b32_sdwa v11, v1, v11 dst_sel:DWORD dst_unused:UNUSED_PAD src0_sel:DWORD src1_sel:WORD_0
	v_or_b32_e32 v10, v0, v10
	v_or_b32_sdwa v13, v32, v13 dst_sel:DWORD dst_unused:UNUSED_PAD src0_sel:DWORD src1_sel:WORD_0
	v_or_b32_e32 v12, v15, v12
	global_store_dwordx4 v[20:21], v[10:13], off glc slc
	v_add_co_u32_e64 v20, s[18:19], v20, v33
	v_addc_co_u32_e64 v21, s[18:19], v21, v43, s[18:19]
	s_andn2_b64 exec, exec, s[44:45]
	s_cbranch_execnz .LBB2_307
; %bb.308:                              ;   in Loop: Header=BB2_230 Depth=1
	s_or_b64 exec, exec, s[44:45]
	v_accvgpr_read_b32 v51, a9
	v_accvgpr_read_b32 v32, a0
	;; [unrolled: 1-line block ×6, first 2 shown]
.LBB2_309:                              ;   in Loop: Header=BB2_230 Depth=1
	s_or_b64 exec, exec, s[42:43]
	v_and_b32_e32 v11, 14, v60
	v_cndmask_b32_e32 v60, v26, v11, vcc
	v_cmp_ne_u32_e64 s[18:19], 0, v60
	s_mov_b64 s[42:43], 0
	v_mov_b32_e32 v18, 0
                                        ; implicit-def: $vgpr19
                                        ; implicit-def: $vgpr10
	s_and_saveexec_b64 s[44:45], s[18:19]
	s_cbranch_execz .LBB2_311
; %bb.310:                              ;   in Loop: Header=BB2_230 Depth=1
	v_sub_u32_e32 v0, v26, v11
	v_cndmask_b32_e32 v0, 0, v0, vcc
	v_cmp_lt_i32_e32 vcc, 0, v25
	v_add3_u32 v18, v24, v22, v0
	v_cndmask_b32_e32 v0, 0, v48, vcc
	v_sub_u32_e32 v0, v0, v25
	v_lshl_add_u32 v19, v0, 6, v23
	v_ashrrev_i32_e32 v0, 31, v19
	v_lshrrev_b32_e32 v0, 26, v0
	v_add_u32_e32 v0, v19, v0
	s_mov_b64 s[42:43], exec
	v_ashrrev_i32_e32 v10, 6, v0
.LBB2_311:                              ;   in Loop: Header=BB2_230 Depth=1
	s_or_b64 exec, exec, s[44:45]
	s_and_b64 s[42:43], s[42:43], exec
.LBB2_312:                              ;   in Loop: Header=BB2_230 Depth=1
	s_or_b64 exec, exec, s[40:41]
	s_and_saveexec_b64 s[18:19], s[42:43]
	s_cbranch_execz .LBB2_321
.LBB2_313:                              ;   in Loop: Header=BB2_230 Depth=1
	v_ashrrev_i32_e32 v0, 31, v60
	v_add_u32_sdwa v0, v60, v0 dst_sel:DWORD dst_unused:UNUSED_PAD src0_sel:DWORD src1_sel:BYTE_3
	v_ashrrev_i32_e32 v22, 8, v0
	v_sub_u32_e32 v20, v22, v10
	v_ashrrev_i32_e32 v0, 31, v19
	v_cmp_lt_i32_e32 vcc, 0, v20
	v_lshrrev_b32_e32 v21, 26, v0
	s_and_saveexec_b64 s[40:41], vcc
	s_cbranch_execz .LBB2_317
; %bb.314:                              ;   in Loop: Header=BB2_230 Depth=1
	v_add_u32_e32 v0, v19, v21
	v_and_b32_e32 v0, 0x7fffffc0, v0
	v_sub_u32_e32 v0, v19, v0
	v_lshlrev_b32_e32 v0, 1, v0
	s_trap 2
	ds_read_b128 v[12:15], v0
	v_lshlrev_b32_e32 v1, 8, v10
	v_add3_u32 v0, v0, v18, v1
	ds_read_b64 v[10:11], v0
	v_ashrrev_i32_e32 v1, 31, v0
	s_waitcnt lgkmcnt(0)
	v_add_co_u32_e32 v12, vcc, v12, v0
	v_addc_co_u32_e32 v13, vcc, v13, v1, vcc
	v_add_co_u32_e32 v14, vcc, v14, v0
	v_addc_co_u32_e32 v15, vcc, v15, v1, vcc
	s_waitcnt lgkmcnt(0)
	v_add_co_u32_e32 v16, vcc, v10, v0
	v_addc_co_u32_e32 v17, vcc, v11, v1, vcc
	s_mov_b64 s[42:43], 0
.LBB2_315:                              ;   Parent Loop BB2_230 Depth=1
                                        ; =>  This Inner Loop Header: Depth=2
	flat_load_ushort v0, v[12:13] glc slc
	flat_load_ushort v1, v[12:13] offset:128 glc slc
	flat_load_ushort v11, v[14:15] glc slc
	flat_load_ushort v23, v[14:15] offset:128 glc slc
	v_add_co_u32_e32 v12, vcc, v12, v30
	v_addc_co_u32_e32 v13, vcc, v13, v49, vcc
	v_add_co_u32_e32 v14, vcc, v14, v30
	v_addc_co_u32_e32 v15, vcc, v15, v49, vcc
	v_sub_u32_e32 v20, v20, v48
	v_cmp_gt_i32_e32 vcc, 1, v20
	s_or_b64 s[42:43], vcc, s[42:43]
	s_waitcnt vmcnt(0) lgkmcnt(0)
	v_fma_f16 v0, v0, v10, v11
	v_fma_f16 v1, v1, v10, v23
	flat_store_short v[16:17], v0 glc slc
	flat_store_short v[16:17], v1 offset:128 glc slc
	v_add_co_u32_e32 v16, vcc, v16, v30
	v_addc_co_u32_e32 v17, vcc, v17, v49, vcc
	s_andn2_b64 exec, exec, s[42:43]
	s_cbranch_execnz .LBB2_315
; %bb.316:                              ;   in Loop: Header=BB2_230 Depth=1
	s_or_b64 exec, exec, s[42:43]
.LBB2_317:                              ;   in Loop: Header=BB2_230 Depth=1
	s_or_b64 exec, exec, s[40:41]
	v_lshlrev_b32_e32 v10, 8, v22
	v_cmp_ne_u32_e32 vcc, v60, v10
	s_and_b64 exec, exec, vcc
	s_cbranch_execz .LBB2_321
; %bb.318:                              ;   in Loop: Header=BB2_230 Depth=1
	v_add_u32_e32 v0, v19, v21
	v_and_b32_e32 v0, 0xffffffc0, v0
	v_sub_u32_e32 v0, v19, v0
	v_lshlrev_b32_e32 v1, 6, v20
	v_sub_u32_e32 v0, v0, v1
	v_ashrrev_i32_e32 v1, 31, v0
	v_lshrrev_b32_e32 v1, 26, v1
	v_add_u32_e32 v1, v0, v1
	v_and_b32_e32 v11, 0x7fffffc0, v1
	v_sub_u32_e32 v0, v0, v11
	v_lshlrev_b32_e32 v1, 1, v1
	v_and_b32_e32 v1, 0xffffff80, v1
	v_lshlrev_b32_e32 v0, 1, v0
	v_add3_u32 v10, v1, v0, v10
	v_sub_u32_e32 v19, v60, v10
	v_cmp_lt_i32_e32 vcc, 1, v19
	s_and_b64 exec, exec, vcc
	s_cbranch_execz .LBB2_321
; %bb.319:                              ;   in Loop: Header=BB2_230 Depth=1
	s_trap 2
	ds_read_b128 v[12:15], v0
	v_add_u32_e32 v0, v10, v18
	ds_read_b64 v[10:11], v0
	v_ashrrev_i32_e32 v1, 31, v0
	s_mov_b64 s[40:41], 0
	s_waitcnt lgkmcnt(0)
	v_add_co_u32_e32 v12, vcc, v12, v0
	v_addc_co_u32_e32 v13, vcc, v13, v1, vcc
	v_add_co_u32_e32 v14, vcc, v14, v0
	v_addc_co_u32_e32 v15, vcc, v15, v1, vcc
	;; [unrolled: 2-line block ×3, first 2 shown]
.LBB2_320:                              ;   Parent Loop BB2_230 Depth=1
                                        ; =>  This Inner Loop Header: Depth=2
	flat_load_ushort v0, v[12:13] glc slc
	flat_load_ushort v1, v[14:15] glc slc
	v_add_co_u32_e32 v12, vcc, v12, v3
	v_addc_co_u32_e32 v13, vcc, v13, v52, vcc
	v_add_co_u32_e32 v14, vcc, v14, v3
	v_addc_co_u32_e32 v15, vcc, v15, v52, vcc
	v_sub_u32_e32 v19, v19, v46
	v_cmp_gt_i32_e32 vcc, 2, v19
	s_or_b64 s[40:41], vcc, s[40:41]
	s_waitcnt vmcnt(0) lgkmcnt(0)
	v_fma_f16 v0, v0, v10, v1
	flat_store_short v[16:17], v0 glc slc
	v_add_co_u32_e32 v16, vcc, v16, v3
	v_addc_co_u32_e32 v17, vcc, v17, v52, vcc
	s_andn2_b64 exec, exec, s[40:41]
	s_cbranch_execnz .LBB2_320
.LBB2_321:                              ;   in Loop: Header=BB2_230 Depth=1
	s_or_b64 exec, exec, s[18:19]
	v_cmp_ne_u32_e64 s[18:19], 0, v43
.LBB2_322:                              ;   in Loop: Header=BB2_230 Depth=1
	s_and_saveexec_b64 s[40:41], s[10:11]
	s_cbranch_execz .LBB2_341
; %bb.323:                              ;   in Loop: Header=BB2_230 Depth=1
	s_and_saveexec_b64 vcc, s[28:29]
	s_xor_b64 s[42:43], exec, vcc
	s_cbranch_execz .LBB2_338
; %bb.324:                              ;   in Loop: Header=BB2_230 Depth=1
	s_and_saveexec_b64 s[44:45], s[12:13]
	s_cbranch_execz .LBB2_337
; %bb.325:                              ;   in Loop: Header=BB2_230 Depth=1
	s_mov_b64 s[48:49], exec
	v_mbcnt_lo_u32_b32 v0, s48, 0
	v_mbcnt_hi_u32_b32 v0, s49, v0
	v_cmp_eq_u32_e32 vcc, 0, v0
	s_waitcnt vmcnt(0) lgkmcnt(0)
	buffer_wbinvl1_vol
	s_and_saveexec_b64 s[46:47], vcc
	s_cbranch_execz .LBB2_327
; %bb.326:                              ;   in Loop: Header=BB2_230 Depth=1
	s_bcnt1_i32_b64 vcc_lo, s[48:49]
	v_mov_b32_e32 v44, vcc_lo
	ds_add_u64 v0, v[44:45]
	s_trap 2
.LBB2_327:                              ;   in Loop: Header=BB2_230 Depth=1
	s_or_b64 exec, exec, s[46:47]
	s_trap 2
	ds_read_b64 v[10:11], v0
	v_add_co_u32_e32 v36, vcc, v36, v48
	v_addc_co_u32_e32 v37, vcc, 0, v37, vcc
	s_waitcnt lgkmcnt(0)
	v_cmp_lt_u64_e32 vcc, v[10:11], v[36:37]
	s_and_saveexec_b64 s[46:47], vcc
	s_cbranch_execz .LBB2_336
; %bb.328:                              ;   in Loop: Header=BB2_230 Depth=1
	s_mov_b32 s60, 0
	s_mov_b64 s[48:49], 0
                                        ; implicit-def: $sgpr50_sgpr51
                                        ; implicit-def: $sgpr52_sgpr53
	s_branch .LBB2_330
.LBB2_329:                              ;   in Loop: Header=BB2_330 Depth=2
	s_or_b64 exec, exec, s[56:57]
	s_and_b64 vcc, exec, vcc
	s_or_b64 s[48:49], vcc, s[48:49]
	s_andn2_b64 vcc, s[50:51], exec
	s_and_b64 s[50:51], s[52:53], exec
	s_or_b64 s[50:51], vcc, s[50:51]
	s_andn2_b64 exec, exec, s[48:49]
	s_cbranch_execz .LBB2_334
.LBB2_330:                              ;   Parent Loop BB2_230 Depth=1
                                        ; =>  This Inner Loop Header: Depth=2
	s_add_i32 s60, s60, 1
	s_cmpk_lg_i32 s60, 0x2710
	s_cselect_b64 s[54:55], -1, 0
	s_and_b64 vcc, exec, s[54:55]
                                        ; implicit-def: $sgpr56_sgpr57
	s_cbranch_vccnz .LBB2_332
; %bb.331:                              ;   in Loop: Header=BB2_330 Depth=2
	s_trap 2
	ds_read_b64 v[10:11], v0
	s_andn2_b64 s[54:55], s[54:55], exec
	s_mov_b32 s60, 0
	s_mov_b64 s[56:57], -1
	s_waitcnt lgkmcnt(0)
	flat_load_dword v0, v[10:11] glc
	s_waitcnt vmcnt(0) lgkmcnt(0)
	buffer_invl2
	buffer_wbinvl1_vol
	v_cmp_eq_u32_e32 vcc, 0, v0
	s_and_b64 vcc, vcc, exec
	s_or_b64 s[54:55], s[54:55], vcc
.LBB2_332:                              ;   in Loop: Header=BB2_330 Depth=2
	s_andn2_b64 s[52:53], s[52:53], exec
	s_and_b64 s[56:57], s[56:57], exec
	s_mov_b64 vcc, -1
	s_or_b64 s[52:53], s[52:53], s[56:57]
	s_and_saveexec_b64 s[56:57], s[54:55]
	s_cbranch_execz .LBB2_329
; %bb.333:                              ;   in Loop: Header=BB2_330 Depth=2
	s_sleep 1
	s_trap 2
	ds_read_b64 v[10:11], v0
	s_andn2_b64 s[52:53], s[52:53], exec
	s_waitcnt lgkmcnt(0)
	v_cmp_ge_u64_e32 vcc, v[10:11], v[36:37]
	s_orn2_b64 vcc, vcc, exec
	s_branch .LBB2_329
.LBB2_334:                              ;   in Loop: Header=BB2_230 Depth=1
	s_or_b64 exec, exec, s[48:49]
	s_and_saveexec_b64 vcc, s[50:51]
	s_xor_b64 vcc, exec, vcc
	s_cbranch_execz .LBB2_336
; %bb.335:                              ;   in Loop: Header=BB2_230 Depth=1
	v_mov_b32_e32 v0, 1
	ds_write_b32 v0, v0
	s_trap 2
.LBB2_336:                              ;   in Loop: Header=BB2_230 Depth=1
	s_or_b64 exec, exec, s[46:47]
	;;#ASMSTART
	s_wakeup
	;;#ASMEND
.LBB2_337:                              ;   in Loop: Header=BB2_230 Depth=1
	s_or_b64 exec, exec, s[44:45]
.LBB2_338:                              ;   in Loop: Header=BB2_230 Depth=1
	s_andn2_saveexec_b64 vcc, s[42:43]
	s_cbranch_execz .LBB2_340
; %bb.339:                              ;   in Loop: Header=BB2_230 Depth=1
	s_waitcnt vmcnt(0) lgkmcnt(0)
	buffer_wbinvl1_vol
	s_barrier
.LBB2_340:                              ;   in Loop: Header=BB2_230 Depth=1
	s_or_b64 exec, exec, vcc
.LBB2_341:                              ;   in Loop: Header=BB2_230 Depth=1
	s_or_b64 exec, exec, s[40:41]
	v_and_b32_e32 v0, 16, v2
	v_cmp_ne_u32_e32 vcc, 0, v0
	s_and_b64 vcc, vcc, s[18:19]
	s_and_saveexec_b64 s[18:19], vcc
	s_cbranch_execz .LBB2_343
; %bb.342:                              ;   in Loop: Header=BB2_230 Depth=1
	s_waitcnt vmcnt(0) lgkmcnt(0)
	buffer_wbinvl1_vol
.LBB2_343:                              ;   in Loop: Header=BB2_230 Depth=1
	s_or_b64 exec, exec, s[18:19]
	v_and_b32_e32 v0, 32, v2
	v_cmp_ne_u32_e32 vcc, 0, v0
	s_and_saveexec_b64 s[18:19], vcc
	s_cbranch_execz .LBB2_345
; %bb.344:                              ;   in Loop: Header=BB2_230 Depth=1
	v_add_co_u32_e32 v8, vcc, 1, v8
	v_addc_co_u32_e32 v9, vcc, 0, v9, vcc
	flat_store_dwordx2 v[28:29], v[8:9]
.LBB2_345:                              ;   in Loop: Header=BB2_230 Depth=1
	s_or_b64 exec, exec, s[18:19]
	v_mov_b32_e32 v14, v53
.LBB2_346:                              ;   in Loop: Header=BB2_230 Depth=1
	s_or_b64 exec, exec, s[38:39]
	s_and_saveexec_b64 s[38:39], s[36:37]
	s_cbranch_execz .LBB2_229
; %bb.347:                              ;   in Loop: Header=BB2_230 Depth=1
	v_and_b32_e32 v0, 4, v2
	v_cmp_ne_u32_e32 vcc, 0, v0
	s_mov_b64 s[36:37], -1
	s_and_saveexec_b64 s[18:19], vcc
	s_cbranch_execnz .LBB2_350
; %bb.348:                              ;   in Loop: Header=BB2_230 Depth=1
	s_or_b64 exec, exec, s[18:19]
	s_xor_b64 s[18:19], s[36:37], -1
	s_and_saveexec_b64 s[36:37], s[18:19]
	s_cbranch_execnz .LBB2_361
.LBB2_349:                              ;   in Loop: Header=BB2_230 Depth=1
	s_or_b64 exec, exec, s[36:37]
	s_and_saveexec_b64 s[18:19], s[10:11]
	s_cbranch_execnz .LBB2_370
	s_branch .LBB2_388
.LBB2_350:                              ;   in Loop: Header=BB2_230 Depth=1
	v_add_co_u32_e32 v10, vcc, 1, v8
	v_addc_co_u32_e32 v11, vcc, 0, v9, vcc
	v_cmp_lt_u64_e32 vcc, v[34:35], v[10:11]
	v_mov_b32_e32 v12, 1
	s_and_saveexec_b64 s[36:37], vcc
	s_cbranch_execz .LBB2_360
; %bb.351:                              ;   in Loop: Header=BB2_230 Depth=1
	s_mov_b64 s[40:41], 0
	v_mov_b32_e32 v12, 0
                                        ; implicit-def: $sgpr42_sgpr43
	s_branch .LBB2_355
.LBB2_352:                              ;   in Loop: Header=BB2_355 Depth=2
	s_or_b64 exec, exec, s[50:51]
	v_mov_b32_e32 v13, 0
	s_orn2_b64 s[48:49], s[48:49], exec
.LBB2_353:                              ;   in Loop: Header=BB2_355 Depth=2
	s_or_b64 exec, exec, s[46:47]
	s_andn2_b64 vcc, s[42:43], exec
	s_and_b64 s[42:43], s[48:49], exec
	s_or_b64 s[42:43], vcc, s[42:43]
	v_mov_b32_e32 v12, v13
.LBB2_354:                              ;   in Loop: Header=BB2_355 Depth=2
	s_or_b64 exec, exec, s[44:45]
	s_waitcnt vmcnt(0) lgkmcnt(0)
	v_cmp_ge_u64_e32 vcc, v[34:35], v[10:11]
	s_xor_b64 s[44:45], s[42:43], -1
	s_or_b64 vcc, s[44:45], vcc
	s_and_b64 vcc, exec, vcc
	s_or_b64 s[40:41], vcc, s[40:41]
	s_andn2_b64 exec, exec, s[40:41]
	s_cbranch_execz .LBB2_359
.LBB2_355:                              ;   Parent Loop BB2_230 Depth=1
                                        ; =>  This Inner Loop Header: Depth=2
	s_sleep 1
	flat_load_dwordx2 v[34:35], v[28:29] glc
	v_and_b32_e32 v0, 64, v2
	v_cmp_eq_u32_e32 vcc, 0, v0
	s_andn2_b64 s[42:43], s[42:43], exec
	s_and_saveexec_b64 s[44:45], vcc
	s_cbranch_execz .LBB2_354
; %bb.356:                              ;   in Loop: Header=BB2_355 Depth=2
	v_add_u32_e32 v13, 1, v12
	v_cmp_lt_i32_e32 vcc, s59, v12
	s_mov_b64 s[48:49], -1
	s_and_saveexec_b64 s[46:47], vcc
	s_cbranch_execz .LBB2_353
; %bb.357:                              ;   in Loop: Header=BB2_355 Depth=2
	s_trap 2
	ds_read_b64 v[12:13], v0
	s_waitcnt vmcnt(0) lgkmcnt(0)
	flat_load_dword v12, v[12:13] glc
	s_waitcnt vmcnt(0) lgkmcnt(0)
	buffer_invl2
	buffer_wbinvl1_vol
	v_cmp_ne_u32_e32 vcc, 0, v12
	s_and_saveexec_b64 s[50:51], vcc
	s_cbranch_execz .LBB2_352
; %bb.358:                              ;   in Loop: Header=BB2_355 Depth=2
	v_or_b32_e32 v2, 64, v2
	s_xor_b64 s[48:49], exec, -1
	ds_write_b32 v0, v12
	s_trap 2
	s_branch .LBB2_352
.LBB2_359:                              ;   in Loop: Header=BB2_230 Depth=1
	s_or_b64 exec, exec, s[40:41]
	v_and_b32_e32 v12, 4, v2
.LBB2_360:                              ;   in Loop: Header=BB2_230 Depth=1
	s_or_b64 exec, exec, s[36:37]
	v_cmp_eq_u32_e32 vcc, 0, v12
	s_orn2_b64 s[36:37], vcc, exec
	;;#ASMSTART
	s_wakeup
	;;#ASMEND
	s_or_b64 exec, exec, s[18:19]
	s_xor_b64 s[18:19], s[36:37], -1
	s_and_saveexec_b64 s[36:37], s[18:19]
	s_cbranch_execz .LBB2_349
.LBB2_361:                              ;   in Loop: Header=BB2_230 Depth=1
	v_and_b32_e32 v0, 0x100, v2
	v_cmp_ne_u32_e32 vcc, 0, v0
	v_and_b32_e32 v15, 7, v8
	s_mov_b64 s[18:19], -1
                                        ; implicit-def: $vgpr10_vgpr11
	s_and_saveexec_b64 s[40:41], vcc
	s_cbranch_execz .LBB2_365
; %bb.362:                              ;   in Loop: Header=BB2_230 Depth=1
	v_mad_u64_u32 v[12:13], s[18:19], v15, 24, v[6:7]
	flat_load_dword v0, v[12:13]
                                        ; implicit-def: $vgpr10_vgpr11
	s_waitcnt vmcnt(0) lgkmcnt(0)
	v_cmp_ne_u32_e32 vcc, 1, v0
	v_cmp_eq_u32_e64 s[18:19], 1, v0
	s_and_saveexec_b64 s[42:43], s[18:19]
	s_cbranch_execz .LBB2_364
; %bb.363:                              ;   in Loop: Header=BB2_230 Depth=1
	flat_load_dword v10, v[12:13] offset:4 glc
	s_waitcnt vmcnt(0) lgkmcnt(0)
	v_ashrrev_i32_e32 v11, 31, v10
	v_lshrrev_b64 v[10:11], 1, v[10:11]
.LBB2_364:                              ;   in Loop: Header=BB2_230 Depth=1
	s_or_b64 exec, exec, s[42:43]
	s_orn2_b64 s[18:19], vcc, exec
.LBB2_365:                              ;   in Loop: Header=BB2_230 Depth=1
	s_or_b64 exec, exec, s[40:41]
	s_and_saveexec_b64 vcc, s[18:19]
; %bb.366:                              ;   in Loop: Header=BB2_230 Depth=1
	v_mad_i64_i32 v[10:11], s[18:19], v15, v56, 0
; %bb.367:                              ;   in Loop: Header=BB2_230 Depth=1
	s_or_b64 exec, exec, vcc
	v_lshlrev_b64 v[10:11], 1, v[10:11]
	v_add_co_u32_e32 v10, vcc, v58, v10
	v_addc_co_u32_e32 v11, vcc, v59, v11, vcc
	ds_write_b64 v0, v[10:11] offset:728
	v_and_b32_e32 v0, 0x2000, v2
	v_cmp_ne_u32_e32 vcc, 0, v0
	s_and_saveexec_b64 s[18:19], vcc
	s_cbranch_execz .LBB2_369
; %bb.368:                              ;   in Loop: Header=BB2_230 Depth=1
	ds_read_b64 v[10:11], v0 offset:584
	s_waitcnt lgkmcnt(0)
	v_add_co_u32_e32 v10, vcc, 1, v10
	v_addc_co_u32_e32 v11, vcc, 0, v11, vcc
	ds_write_b64 v0, v[10:11] offset:584
.LBB2_369:                              ;   in Loop: Header=BB2_230 Depth=1
	s_or_b64 exec, exec, s[18:19]
	v_add_co_u32_e32 v8, vcc, 1, v8
	v_addc_co_u32_e32 v9, vcc, 0, v9, vcc
	s_or_b64 exec, exec, s[36:37]
	s_and_saveexec_b64 s[18:19], s[10:11]
	s_cbranch_execz .LBB2_388
.LBB2_370:                              ;   in Loop: Header=BB2_230 Depth=1
	s_and_saveexec_b64 vcc, s[28:29]
	s_xor_b64 s[36:37], exec, vcc
	s_cbranch_execz .LBB2_385
; %bb.371:                              ;   in Loop: Header=BB2_230 Depth=1
	s_and_saveexec_b64 s[40:41], s[12:13]
	s_cbranch_execz .LBB2_384
; %bb.372:                              ;   in Loop: Header=BB2_230 Depth=1
	s_mov_b64 s[44:45], exec
	v_mbcnt_lo_u32_b32 v0, s44, 0
	v_mbcnt_hi_u32_b32 v0, s45, v0
	v_cmp_eq_u32_e32 vcc, 0, v0
	s_waitcnt vmcnt(0) lgkmcnt(0)
	buffer_wbinvl1_vol
	s_and_saveexec_b64 s[42:43], vcc
	s_cbranch_execz .LBB2_374
; %bb.373:                              ;   in Loop: Header=BB2_230 Depth=1
	s_bcnt1_i32_b64 vcc_lo, s[44:45]
	v_mov_b32_e32 v44, vcc_lo
	ds_add_u64 v0, v[44:45]
	s_trap 2
.LBB2_374:                              ;   in Loop: Header=BB2_230 Depth=1
	s_or_b64 exec, exec, s[42:43]
	s_trap 2
	ds_read_b64 v[10:11], v0
	v_add_co_u32_e32 v36, vcc, v36, v48
	v_addc_co_u32_e32 v37, vcc, 0, v37, vcc
	s_waitcnt lgkmcnt(0)
	v_cmp_lt_u64_e32 vcc, v[10:11], v[36:37]
	s_and_saveexec_b64 s[42:43], vcc
	s_cbranch_execz .LBB2_383
; %bb.375:                              ;   in Loop: Header=BB2_230 Depth=1
	s_mov_b32 s54, 0
	s_mov_b64 s[44:45], 0
                                        ; implicit-def: $sgpr46_sgpr47
                                        ; implicit-def: $sgpr48_sgpr49
	s_branch .LBB2_377
.LBB2_376:                              ;   in Loop: Header=BB2_377 Depth=2
	s_or_b64 exec, exec, s[52:53]
	s_and_b64 vcc, exec, vcc
	s_or_b64 s[44:45], vcc, s[44:45]
	s_andn2_b64 vcc, s[46:47], exec
	s_and_b64 s[46:47], s[48:49], exec
	s_or_b64 s[46:47], vcc, s[46:47]
	s_andn2_b64 exec, exec, s[44:45]
	s_cbranch_execz .LBB2_381
.LBB2_377:                              ;   Parent Loop BB2_230 Depth=1
                                        ; =>  This Inner Loop Header: Depth=2
	s_add_i32 s54, s54, 1
	s_cmpk_lg_i32 s54, 0x2710
	s_cselect_b64 s[50:51], -1, 0
	s_and_b64 vcc, exec, s[50:51]
                                        ; implicit-def: $sgpr52_sgpr53
	s_cbranch_vccnz .LBB2_379
; %bb.378:                              ;   in Loop: Header=BB2_377 Depth=2
	s_trap 2
	ds_read_b64 v[10:11], v0
	s_andn2_b64 s[50:51], s[50:51], exec
	s_mov_b32 s54, 0
	s_mov_b64 s[52:53], -1
	s_waitcnt lgkmcnt(0)
	flat_load_dword v0, v[10:11] glc
	s_waitcnt vmcnt(0) lgkmcnt(0)
	buffer_invl2
	buffer_wbinvl1_vol
	v_cmp_eq_u32_e32 vcc, 0, v0
	s_and_b64 vcc, vcc, exec
	s_or_b64 s[50:51], s[50:51], vcc
.LBB2_379:                              ;   in Loop: Header=BB2_377 Depth=2
	s_andn2_b64 s[48:49], s[48:49], exec
	s_and_b64 s[52:53], s[52:53], exec
	s_mov_b64 vcc, -1
	s_or_b64 s[48:49], s[48:49], s[52:53]
	s_and_saveexec_b64 s[52:53], s[50:51]
	s_cbranch_execz .LBB2_376
; %bb.380:                              ;   in Loop: Header=BB2_377 Depth=2
	s_sleep 1
	s_trap 2
	ds_read_b64 v[10:11], v0
	s_andn2_b64 s[48:49], s[48:49], exec
	s_waitcnt lgkmcnt(0)
	v_cmp_ge_u64_e32 vcc, v[10:11], v[36:37]
	s_orn2_b64 vcc, vcc, exec
	s_branch .LBB2_376
.LBB2_381:                              ;   in Loop: Header=BB2_230 Depth=1
	s_or_b64 exec, exec, s[44:45]
	s_and_saveexec_b64 vcc, s[46:47]
	s_xor_b64 vcc, exec, vcc
	s_cbranch_execz .LBB2_383
; %bb.382:                              ;   in Loop: Header=BB2_230 Depth=1
	v_mov_b32_e32 v0, 1
	ds_write_b32 v0, v0
	s_trap 2
.LBB2_383:                              ;   in Loop: Header=BB2_230 Depth=1
	s_or_b64 exec, exec, s[42:43]
	;;#ASMSTART
	s_wakeup
	;;#ASMEND
.LBB2_384:                              ;   in Loop: Header=BB2_230 Depth=1
	s_or_b64 exec, exec, s[40:41]
.LBB2_385:                              ;   in Loop: Header=BB2_230 Depth=1
	s_andn2_saveexec_b64 vcc, s[36:37]
	s_cbranch_execz .LBB2_387
; %bb.386:                              ;   in Loop: Header=BB2_230 Depth=1
	s_waitcnt vmcnt(0) lgkmcnt(0)
	buffer_wbinvl1_vol
	s_barrier
.LBB2_387:                              ;   in Loop: Header=BB2_230 Depth=1
	s_or_b64 exec, exec, vcc
.LBB2_388:                              ;   in Loop: Header=BB2_230 Depth=1
	s_or_b64 exec, exec, s[18:19]
	s_trap 2
	ds_read_b32 v0, v0
	v_sub_u32_e32 v1, v42, v14
	v_min_i32_e32 v1, v53, v1
	v_cmp_lt_i32_e32 vcc, 0, v1
	s_waitcnt lgkmcnt(0)
	v_readfirstlane_b32 s18, v0
	s_cmp_eq_u32 s18, 0
	s_cselect_b64 s[18:19], -1, 0
	v_and_b32_e32 v0, 16, v2
	s_and_b64 s[18:19], vcc, s[18:19]
	v_cmp_ne_u32_e32 vcc, 0, v0
	s_and_b64 vcc, vcc, s[18:19]
	s_and_saveexec_b64 s[18:19], vcc
	s_cbranch_execz .LBB2_390
; %bb.389:                              ;   in Loop: Header=BB2_230 Depth=1
	s_waitcnt vmcnt(0)
	buffer_wbinvl1_vol
.LBB2_390:                              ;   in Loop: Header=BB2_230 Depth=1
	s_or_b64 exec, exec, s[18:19]
	v_and_b32_e32 v0, 32, v2
	v_cmp_ne_u32_e32 vcc, 0, v0
	s_and_saveexec_b64 s[18:19], vcc
	s_cbranch_execz .LBB2_228
; %bb.391:                              ;   in Loop: Header=BB2_230 Depth=1
	v_add_co_u32_e32 v8, vcc, 1, v8
	v_addc_co_u32_e32 v9, vcc, 0, v9, vcc
	flat_store_dwordx2 v[28:29], v[8:9]
	s_branch .LBB2_228
.LBB2_392:
	s_or_b64 exec, exec, s[30:31]
	v_accvgpr_read_b32 v27, a7
	v_accvgpr_read_b32 v31, a1
	;; [unrolled: 1-line block ×4, first 2 shown]
.LBB2_393:
	s_or_b64 exec, exec, s[22:23]
.LBB2_394:
	s_or_b64 exec, exec, s[20:21]
                                        ; implicit-def: $vgpr50_vgpr51
                                        ; implicit-def: $vgpr4_vgpr5
                                        ; implicit-def: $vgpr60_vgpr61
                                        ; implicit-def: $vgpr56
                                        ; implicit-def: $vgpr34_vgpr35
                                        ; implicit-def: $vgpr58_vgpr59
                                        ; implicit-def: $vgpr28_vgpr29
                                        ; implicit-def: $vgpr32
                                        ; implicit-def: $vgpr15
                                        ; implicit-def: $vgpr38_vgpr39
.LBB2_395:
	s_andn2_saveexec_b64 s[22:23], s[26:27]
	s_cbranch_execz .LBB2_566
; %bb.396:
	s_mov_b64 s[28:29], 0
	v_cmp_ne_u64_e32 vcc, 0, v[4:5]
	v_pk_mov_b32 v[36:37], 0, 0
	s_and_saveexec_b64 s[26:27], vcc
	s_cbranch_execz .LBB2_565
; %bb.397:
	v_and_b32_e32 v3, 63, v31
	v_cmp_eq_u32_e64 s[12:13], 0, v3
	v_ashrrev_i32_e32 v3, 31, v32
	v_lshrrev_b32_e32 v3, 26, v3
	s_waitcnt vmcnt(0)
	v_lshrrev_b32_e32 v10, 6, v62
	v_add_u32_e32 v11, v32, v3
	v_mov_b32_e32 v0, v31
	v_and_b32_e32 v3, 0xffffffc0, v11
	v_ashrrev_i32_e32 v11, 6, v11
	v_lshlrev_b32_e32 v31, 10, v10
	v_sub_u32_e32 v30, 0, v11
	v_add_u32_e32 v11, 0xfffffc00, v31
	s_movk_i32 s18, 0x400
	v_ashrrev_i32_e32 v12, 31, v11
	v_add_co_u32_e64 v48, s[18:19], s18, v11
	v_addc_co_u32_e64 v49, s[18:19], 0, v12, s[18:19]
	v_mov_b32_e32 v11, 0xfffffe00
	v_lshl_add_u32 v11, v10, 9, v11
	s_movk_i32 s18, 0x200
	v_ashrrev_i32_e32 v12, 31, v11
	v_add_co_u32_e64 v52, s[18:19], s18, v11
	v_addc_co_u32_e64 v53, s[18:19], 0, v12, s[18:19]
	v_lshlrev_b32_e32 v54, 7, v10
	v_add_u32_e32 v11, 0xffffff80, v54
	s_movk_i32 s18, 0x80
	s_lshr_b32 s6, s62, 27
	v_ashrrev_i32_e32 v12, 31, v11
	v_add_co_u32_e64 v55, s[18:19], s18, v11
	v_accvgpr_write_b32 a0, v26
	s_add_i32 s62, s62, s6
	v_cmp_eq_u32_e32 vcc, 64, v62
	v_sub_u32_e32 v3, v32, v3
	v_lshlrev_b32_e32 v14, 4, v32
	v_addc_co_u32_e64 v40, s[18:19], 0, v12, s[18:19]
	v_pk_mov_b32 v[16:17], 0, 0
	s_waitcnt lgkmcnt(0)
	v_accvgpr_write_b32 a6, v58
	v_accvgpr_write_b32 a1, v27
	s_ashr_i32 s58, s62, 5
	v_cmp_ge_i32_e64 s[6:7], v32, v62
	v_cmp_ne_u32_e64 s[10:11], 64, v62
	v_mov_b32_e32 v1, v25
	v_cmp_ne_u32_sdwa s[30:31], v25, v62 src0_sel:WORD_0 src1_sel:DWORD
	v_mov_b32_e32 v13, 0
	v_cmp_gt_i32_e64 s[14:15], 1, v3
	v_cmp_lt_i32_e64 s[16:17], v3, v15
	v_ashrrev_i32_e32 v15, 31, v14
	v_cmp_ne_u64_e64 s[18:19], 0, v[60:61]
	s_movk_i32 s59, 0x270e
	v_mov_b32_e32 v41, 1
	s_xor_b64 s[34:35], vcc, -1
	v_lshlrev_b64 v[18:19], 1, v[50:51]
	v_pk_mov_b32 v[36:37], v[16:17], v[16:17] op_sel:[0,1]
	v_accvgpr_write_b32 a2, v56
	v_accvgpr_write_b32 a7, v59
	s_trap 2
	s_branch .LBB2_401
.LBB2_398:                              ;   in Loop: Header=BB2_401 Depth=1
	s_or_b64 exec, exec, vcc
	v_add_co_u32_e32 v8, vcc, 1, v8
	v_addc_co_u32_e32 v9, vcc, 0, v9, vcc
	flat_store_dwordx2 v[28:29], v[8:9]
.LBB2_399:                              ;   in Loop: Header=BB2_401 Depth=1
	s_or_b64 exec, exec, s[20:21]
.LBB2_400:                              ;   in Loop: Header=BB2_401 Depth=1
	s_or_b64 exec, exec, s[38:39]
	v_add_co_u32_e32 v16, vcc, v16, v38
	v_addc_co_u32_e32 v17, vcc, 0, v17, vcc
	v_cmp_ge_u64_e32 vcc, v[16:17], v[4:5]
	s_or_b64 s[28:29], vcc, s[28:29]
	s_andn2_b64 exec, exec, s[28:29]
	s_cbranch_execz .LBB2_564
.LBB2_401:                              ; =>This Loop Header: Depth=1
                                        ;     Child Loop BB2_410 Depth 2
                                        ;     Child Loop BB2_434 Depth 2
	;; [unrolled: 1-line block ×10, first 2 shown]
	v_sub_co_u32_e32 v20, vcc, v4, v16
	v_subb_co_u32_e32 v21, vcc, v5, v17, vcc
	v_cmp_lt_u64_e32 vcc, v[38:39], v[20:21]
	v_cndmask_b32_e64 v21, v21, 0, vcc
	v_cndmask_b32_e32 v20, v20, v38, vcc
	v_add_u32_e32 v11, 15, v20
	v_cmp_eq_u64_e32 vcc, 0, v[20:21]
	v_and_b32_e32 v11, 0x3ffffff0, v11
	s_or_b64 s[36:37], s[6:7], vcc
	v_max_i32_e32 v42, s58, v11
	s_xor_b64 s[20:21], s[36:37], -1
	v_mov_b32_e32 v11, 0
	s_and_saveexec_b64 s[38:39], s[20:21]
	s_cbranch_execz .LBB2_517
; %bb.402:                              ;   in Loop: Header=BB2_401 Depth=1
	s_and_saveexec_b64 s[20:21], s[4:5]
	s_cbranch_execz .LBB2_404
; %bb.403:                              ;   in Loop: Header=BB2_401 Depth=1
	s_trap 2
	ds_read_b64 v[22:23], v0
	s_waitcnt lgkmcnt(0)
	v_add_co_u32_e32 v11, vcc, v22, v18
	v_addc_co_u32_e32 v12, vcc, v23, v19, vcc
	v_lshlrev_b64 v[22:23], 1, v[16:17]
	v_add_co_u32_e32 v22, vcc, v11, v22
	v_addc_co_u32_e32 v23, vcc, v12, v23, vcc
	v_mov_b32_e32 v12, v13
	ds_write_b64 v0, v[22:23]
	ds_write_b64 v0, v[12:13]
.LBB2_404:                              ;   in Loop: Header=BB2_401 Depth=1
	s_or_b64 exec, exec, s[20:21]
	v_and_b32_e32 v11, 8, v2
	v_cmp_ne_u32_e32 vcc, 0, v11
	s_mov_b64 s[40:41], -1
	s_and_saveexec_b64 s[20:21], vcc
	s_cbranch_execz .LBB2_416
; %bb.405:                              ;   in Loop: Header=BB2_401 Depth=1
	v_add_co_u32_e32 v24, vcc, 8, v34
	v_addc_co_u32_e32 v25, vcc, 0, v35, vcc
	v_add_co_u32_e32 v22, vcc, 1, v8
	v_addc_co_u32_e32 v23, vcc, 0, v9, vcc
	v_cmp_lt_u64_e32 vcc, v[24:25], v[22:23]
	v_mov_b32_e32 v11, 1
	s_and_saveexec_b64 s[40:41], vcc
	s_cbranch_execz .LBB2_415
; %bb.406:                              ;   in Loop: Header=BB2_401 Depth=1
	s_mov_b64 s[42:43], 0
	v_mov_b32_e32 v11, 0
                                        ; implicit-def: $sgpr44_sgpr45
	s_branch .LBB2_410
.LBB2_407:                              ;   in Loop: Header=BB2_410 Depth=2
	s_or_b64 exec, exec, s[52:53]
	v_mov_b32_e32 v12, 0
	s_orn2_b64 s[50:51], s[50:51], exec
.LBB2_408:                              ;   in Loop: Header=BB2_410 Depth=2
	s_or_b64 exec, exec, s[48:49]
	s_andn2_b64 vcc, s[44:45], exec
	s_and_b64 s[44:45], s[50:51], exec
	s_or_b64 s[44:45], vcc, s[44:45]
	v_mov_b32_e32 v11, v12
.LBB2_409:                              ;   in Loop: Header=BB2_410 Depth=2
	s_or_b64 exec, exec, s[46:47]
	s_waitcnt vmcnt(0) lgkmcnt(0)
	v_add_co_u32_e32 v24, vcc, 8, v34
	v_addc_co_u32_e32 v25, vcc, 0, v35, vcc
	v_cmp_ge_u64_e32 vcc, v[24:25], v[22:23]
	s_xor_b64 s[46:47], s[44:45], -1
	s_or_b64 vcc, s[46:47], vcc
	s_and_b64 vcc, exec, vcc
	s_or_b64 s[42:43], vcc, s[42:43]
	s_andn2_b64 exec, exec, s[42:43]
	s_cbranch_execz .LBB2_414
.LBB2_410:                              ;   Parent Loop BB2_401 Depth=1
                                        ; =>  This Inner Loop Header: Depth=2
	s_sleep 1
	flat_load_dwordx2 v[34:35], v[28:29] glc
	v_and_b32_e32 v12, 64, v2
	v_cmp_eq_u32_e32 vcc, 0, v12
	s_andn2_b64 s[44:45], s[44:45], exec
	s_and_saveexec_b64 s[46:47], vcc
	s_cbranch_execz .LBB2_409
; %bb.411:                              ;   in Loop: Header=BB2_410 Depth=2
	v_add_u32_e32 v12, 1, v11
	v_cmp_lt_i32_e32 vcc, s59, v11
	s_mov_b64 s[50:51], -1
	s_and_saveexec_b64 s[48:49], vcc
	s_cbranch_execz .LBB2_408
; %bb.412:                              ;   in Loop: Header=BB2_410 Depth=2
	s_trap 2
	ds_read_b64 v[24:25], v0
	s_waitcnt vmcnt(0) lgkmcnt(0)
	flat_load_dword v11, v[24:25] glc
	s_waitcnt vmcnt(0) lgkmcnt(0)
	buffer_invl2
	buffer_wbinvl1_vol
	v_cmp_ne_u32_e32 vcc, 0, v11
	s_and_saveexec_b64 s[52:53], vcc
	s_cbranch_execz .LBB2_407
; %bb.413:                              ;   in Loop: Header=BB2_410 Depth=2
	v_or_b32_e32 v2, 64, v2
	s_xor_b64 s[50:51], exec, -1
	ds_write_b32 v0, v11
	s_trap 2
	s_branch .LBB2_407
.LBB2_414:                              ;   in Loop: Header=BB2_401 Depth=1
	s_or_b64 exec, exec, s[42:43]
	v_and_b32_e32 v11, 8, v2
.LBB2_415:                              ;   in Loop: Header=BB2_401 Depth=1
	s_or_b64 exec, exec, s[40:41]
	v_cmp_eq_u32_e32 vcc, 0, v11
	s_orn2_b64 s[40:41], vcc, exec
	;;#ASMSTART
	s_wakeup
	;;#ASMEND
.LBB2_416:                              ;   in Loop: Header=BB2_401 Depth=1
	s_or_b64 exec, exec, s[20:21]
	s_xor_b64 s[20:21], s[40:41], -1
	v_min_u32_e32 v42, v42, v20
	s_and_saveexec_b64 s[40:41], s[20:21]
	s_cbranch_execz .LBB2_426
; %bb.417:                              ;   in Loop: Header=BB2_401 Depth=1
	v_and_b32_e32 v11, 0x100, v2
	v_cmp_ne_u32_e32 vcc, 0, v11
	v_and_b32_e32 v11, 7, v8
	s_mov_b64 s[20:21], -1
                                        ; implicit-def: $vgpr22_vgpr23
	s_and_saveexec_b64 s[42:43], vcc
	s_cbranch_execz .LBB2_421
; %bb.418:                              ;   in Loop: Header=BB2_401 Depth=1
	v_mad_u64_u32 v[24:25], s[20:21], v11, 24, v[6:7]
	flat_load_dword v21, v[24:25]
	v_lshlrev_b32_e32 v12, 1, v42
	flat_store_dwordx2 v[24:25], v[12:13] offset:8
                                        ; implicit-def: $vgpr22_vgpr23
	s_waitcnt vmcnt(0) lgkmcnt(0)
	v_cmp_ne_u32_e32 vcc, 1, v21
	v_cmp_eq_u32_e64 s[20:21], 1, v21
	s_and_saveexec_b64 s[44:45], s[20:21]
	s_cbranch_execz .LBB2_420
; %bb.419:                              ;   in Loop: Header=BB2_401 Depth=1
	flat_load_dword v22, v[24:25] offset:4 glc
	s_waitcnt vmcnt(0) lgkmcnt(0)
	v_ashrrev_i32_e32 v23, 31, v22
	v_lshrrev_b64 v[22:23], 1, v[22:23]
.LBB2_420:                              ;   in Loop: Header=BB2_401 Depth=1
	s_or_b64 exec, exec, s[44:45]
	s_orn2_b64 s[20:21], vcc, exec
.LBB2_421:                              ;   in Loop: Header=BB2_401 Depth=1
	s_or_b64 exec, exec, s[42:43]
	s_and_saveexec_b64 vcc, s[20:21]
; %bb.422:                              ;   in Loop: Header=BB2_401 Depth=1
	v_mad_i64_i32 v[22:23], s[20:21], v11, v56, 0
; %bb.423:                              ;   in Loop: Header=BB2_401 Depth=1
	s_or_b64 exec, exec, vcc
	v_lshlrev_b64 v[22:23], 1, v[22:23]
	v_add_co_u32_e32 v22, vcc, v58, v22
	v_addc_co_u32_e32 v23, vcc, v59, v23, vcc
	v_and_b32_e32 v11, 0x2000, v2
	v_cmp_ne_u32_e32 vcc, 0, v11
	ds_write_b64 v0, v[22:23] offset:784
	s_and_saveexec_b64 s[20:21], vcc
	s_cbranch_execz .LBB2_425
; %bb.424:                              ;   in Loop: Header=BB2_401 Depth=1
	ds_read_b64 v[22:23], v0 offset:584
	s_waitcnt lgkmcnt(0)
	v_add_co_u32_e32 v22, vcc, 1, v22
	v_addc_co_u32_e32 v23, vcc, 0, v23, vcc
	ds_write_b64 v0, v[22:23] offset:584
.LBB2_425:                              ;   in Loop: Header=BB2_401 Depth=1
	s_or_b64 exec, exec, s[20:21]
	v_add_co_u32_e32 v8, vcc, 1, v8
	v_addc_co_u32_e32 v9, vcc, 0, v9, vcc
.LBB2_426:                              ;   in Loop: Header=BB2_401 Depth=1
	s_or_b64 exec, exec, s[40:41]
	s_and_saveexec_b64 s[20:21], s[10:11]
	s_cbranch_execz .LBB2_445
; %bb.427:                              ;   in Loop: Header=BB2_401 Depth=1
	s_and_saveexec_b64 vcc, s[30:31]
	s_xor_b64 s[40:41], exec, vcc
	s_cbranch_execz .LBB2_442
; %bb.428:                              ;   in Loop: Header=BB2_401 Depth=1
	s_and_saveexec_b64 s[42:43], s[12:13]
	s_cbranch_execz .LBB2_441
; %bb.429:                              ;   in Loop: Header=BB2_401 Depth=1
	s_mov_b64 s[46:47], exec
	v_mbcnt_lo_u32_b32 v11, s46, 0
	v_mbcnt_hi_u32_b32 v11, s47, v11
	v_cmp_eq_u32_e32 vcc, 0, v11
	s_waitcnt vmcnt(0) lgkmcnt(0)
	buffer_wbinvl1_vol
	s_and_saveexec_b64 s[44:45], vcc
	s_cbranch_execz .LBB2_431
; %bb.430:                              ;   in Loop: Header=BB2_401 Depth=1
	s_bcnt1_i32_b64 vcc_lo, s[46:47]
	v_mov_b32_e32 v12, vcc_lo
	ds_add_u64 v0, v[12:13]
	s_trap 2
.LBB2_431:                              ;   in Loop: Header=BB2_401 Depth=1
	s_or_b64 exec, exec, s[44:45]
	s_trap 2
	ds_read_b64 v[22:23], v0
	v_add_co_u32_e32 v36, vcc, v36, v10
	v_addc_co_u32_e32 v37, vcc, 0, v37, vcc
	s_waitcnt lgkmcnt(0)
	v_cmp_lt_u64_e32 vcc, v[22:23], v[36:37]
	s_and_saveexec_b64 s[44:45], vcc
	s_cbranch_execz .LBB2_440
; %bb.432:                              ;   in Loop: Header=BB2_401 Depth=1
	s_mov_b32 s56, 0
	s_mov_b64 s[46:47], 0
                                        ; implicit-def: $sgpr48_sgpr49
                                        ; implicit-def: $sgpr50_sgpr51
	s_branch .LBB2_434
.LBB2_433:                              ;   in Loop: Header=BB2_434 Depth=2
	s_or_b64 exec, exec, s[54:55]
	s_and_b64 vcc, exec, vcc
	s_or_b64 s[46:47], vcc, s[46:47]
	s_andn2_b64 vcc, s[48:49], exec
	s_and_b64 s[48:49], s[50:51], exec
	s_or_b64 s[48:49], vcc, s[48:49]
	s_andn2_b64 exec, exec, s[46:47]
	s_cbranch_execz .LBB2_438
.LBB2_434:                              ;   Parent Loop BB2_401 Depth=1
                                        ; =>  This Inner Loop Header: Depth=2
	s_add_i32 s56, s56, 1
	s_cmpk_lg_i32 s56, 0x2710
	s_cselect_b64 s[52:53], -1, 0
	s_and_b64 vcc, exec, s[52:53]
                                        ; implicit-def: $sgpr54_sgpr55
	s_cbranch_vccnz .LBB2_436
; %bb.435:                              ;   in Loop: Header=BB2_434 Depth=2
	s_trap 2
	ds_read_b64 v[22:23], v0
	s_andn2_b64 s[52:53], s[52:53], exec
	s_mov_b32 s56, 0
	s_mov_b64 s[54:55], -1
	s_waitcnt lgkmcnt(0)
	flat_load_dword v11, v[22:23] glc
	s_waitcnt vmcnt(0) lgkmcnt(0)
	buffer_invl2
	buffer_wbinvl1_vol
	v_cmp_eq_u32_e32 vcc, 0, v11
	s_and_b64 vcc, vcc, exec
	s_or_b64 s[52:53], s[52:53], vcc
.LBB2_436:                              ;   in Loop: Header=BB2_434 Depth=2
	s_andn2_b64 s[50:51], s[50:51], exec
	s_and_b64 s[54:55], s[54:55], exec
	s_mov_b64 vcc, -1
	s_or_b64 s[50:51], s[50:51], s[54:55]
	s_and_saveexec_b64 s[54:55], s[52:53]
	s_cbranch_execz .LBB2_433
; %bb.437:                              ;   in Loop: Header=BB2_434 Depth=2
	s_sleep 1
	s_trap 2
	ds_read_b64 v[22:23], v0
	s_andn2_b64 s[50:51], s[50:51], exec
	s_waitcnt lgkmcnt(0)
	v_cmp_ge_u64_e32 vcc, v[22:23], v[36:37]
	s_orn2_b64 vcc, vcc, exec
	s_branch .LBB2_433
.LBB2_438:                              ;   in Loop: Header=BB2_401 Depth=1
	s_or_b64 exec, exec, s[46:47]
	s_and_saveexec_b64 vcc, s[48:49]
	s_xor_b64 vcc, exec, vcc
	s_cbranch_execz .LBB2_440
; %bb.439:                              ;   in Loop: Header=BB2_401 Depth=1
	ds_write_b32 v0, v41
	s_trap 2
.LBB2_440:                              ;   in Loop: Header=BB2_401 Depth=1
	s_or_b64 exec, exec, s[44:45]
	;;#ASMSTART
	s_wakeup
	;;#ASMEND
.LBB2_441:                              ;   in Loop: Header=BB2_401 Depth=1
	s_or_b64 exec, exec, s[42:43]
.LBB2_442:                              ;   in Loop: Header=BB2_401 Depth=1
	s_andn2_saveexec_b64 vcc, s[40:41]
	s_cbranch_execz .LBB2_444
; %bb.443:                              ;   in Loop: Header=BB2_401 Depth=1
	s_waitcnt vmcnt(0) lgkmcnt(0)
	buffer_wbinvl1_vol
	s_barrier
.LBB2_444:                              ;   in Loop: Header=BB2_401 Depth=1
	s_or_b64 exec, exec, vcc
.LBB2_445:                              ;   in Loop: Header=BB2_401 Depth=1
	s_or_b64 exec, exec, s[20:21]
	s_trap 2
	ds_read_b32 v11, v0
	v_and_b32_e32 v12, 0x4000, v2
	v_cmp_ne_u32_e32 vcc, 0, v12
	s_and_b64 vcc, s[34:35], vcc
	s_and_saveexec_b64 s[20:21], vcc
	s_cbranch_execz .LBB2_464
; %bb.446:                              ;   in Loop: Header=BB2_401 Depth=1
	s_and_saveexec_b64 vcc, s[30:31]
	s_xor_b64 s[40:41], exec, vcc
	s_cbranch_execz .LBB2_461
; %bb.447:                              ;   in Loop: Header=BB2_401 Depth=1
	s_and_saveexec_b64 s[42:43], s[12:13]
	s_cbranch_execz .LBB2_460
; %bb.448:                              ;   in Loop: Header=BB2_401 Depth=1
	s_mov_b64 s[46:47], exec
	v_mbcnt_lo_u32_b32 v12, s46, 0
	v_mbcnt_hi_u32_b32 v12, s47, v12
	v_cmp_eq_u32_e32 vcc, 0, v12
	s_waitcnt vmcnt(0) lgkmcnt(0)
	buffer_wbinvl1_vol
	s_and_saveexec_b64 s[44:45], vcc
	s_cbranch_execz .LBB2_450
; %bb.449:                              ;   in Loop: Header=BB2_401 Depth=1
	s_bcnt1_i32_b64 vcc_lo, s[46:47]
	v_mov_b32_e32 v12, vcc_lo
	ds_add_u64 v0, v[12:13]
	s_trap 2
.LBB2_450:                              ;   in Loop: Header=BB2_401 Depth=1
	s_or_b64 exec, exec, s[44:45]
	s_trap 2
	ds_read_b64 v[22:23], v0
	v_add_co_u32_e32 v36, vcc, v36, v10
	v_addc_co_u32_e32 v37, vcc, 0, v37, vcc
	s_waitcnt lgkmcnt(0)
	v_cmp_lt_u64_e32 vcc, v[22:23], v[36:37]
	s_and_saveexec_b64 s[44:45], vcc
	s_cbranch_execz .LBB2_459
; %bb.451:                              ;   in Loop: Header=BB2_401 Depth=1
	s_mov_b32 s56, 0
	s_mov_b64 s[46:47], 0
                                        ; implicit-def: $sgpr48_sgpr49
                                        ; implicit-def: $sgpr50_sgpr51
	s_branch .LBB2_453
.LBB2_452:                              ;   in Loop: Header=BB2_453 Depth=2
	s_or_b64 exec, exec, s[54:55]
	s_and_b64 vcc, exec, vcc
	s_or_b64 s[46:47], vcc, s[46:47]
	s_andn2_b64 vcc, s[48:49], exec
	s_and_b64 s[48:49], s[50:51], exec
	s_or_b64 s[48:49], vcc, s[48:49]
	s_andn2_b64 exec, exec, s[46:47]
	s_cbranch_execz .LBB2_457
.LBB2_453:                              ;   Parent Loop BB2_401 Depth=1
                                        ; =>  This Inner Loop Header: Depth=2
	s_add_i32 s56, s56, 1
	s_cmpk_lg_i32 s56, 0x2710
	s_cselect_b64 s[52:53], -1, 0
	s_and_b64 vcc, exec, s[52:53]
                                        ; implicit-def: $sgpr54_sgpr55
	s_cbranch_vccnz .LBB2_455
; %bb.454:                              ;   in Loop: Header=BB2_453 Depth=2
	s_trap 2
	ds_read_b64 v[22:23], v0
	s_andn2_b64 s[52:53], s[52:53], exec
	s_mov_b32 s56, 0
	s_mov_b64 s[54:55], -1
	s_waitcnt lgkmcnt(0)
	flat_load_dword v12, v[22:23] glc
	s_waitcnt vmcnt(0) lgkmcnt(0)
	buffer_invl2
	buffer_wbinvl1_vol
	v_cmp_eq_u32_e32 vcc, 0, v12
	s_and_b64 vcc, vcc, exec
	s_or_b64 s[52:53], s[52:53], vcc
.LBB2_455:                              ;   in Loop: Header=BB2_453 Depth=2
	s_andn2_b64 s[50:51], s[50:51], exec
	s_and_b64 s[54:55], s[54:55], exec
	s_mov_b64 vcc, -1
	s_or_b64 s[50:51], s[50:51], s[54:55]
	s_and_saveexec_b64 s[54:55], s[52:53]
	s_cbranch_execz .LBB2_452
; %bb.456:                              ;   in Loop: Header=BB2_453 Depth=2
	s_sleep 1
	s_trap 2
	ds_read_b64 v[22:23], v0
	s_andn2_b64 s[50:51], s[50:51], exec
	s_waitcnt lgkmcnt(0)
	v_cmp_ge_u64_e32 vcc, v[22:23], v[36:37]
	s_orn2_b64 vcc, vcc, exec
	s_branch .LBB2_452
.LBB2_457:                              ;   in Loop: Header=BB2_401 Depth=1
	s_or_b64 exec, exec, s[46:47]
	s_and_saveexec_b64 vcc, s[48:49]
	s_xor_b64 vcc, exec, vcc
	s_cbranch_execz .LBB2_459
; %bb.458:                              ;   in Loop: Header=BB2_401 Depth=1
	ds_write_b32 v0, v41
	s_trap 2
.LBB2_459:                              ;   in Loop: Header=BB2_401 Depth=1
	s_or_b64 exec, exec, s[44:45]
	;;#ASMSTART
	s_wakeup
	;;#ASMEND
.LBB2_460:                              ;   in Loop: Header=BB2_401 Depth=1
	s_or_b64 exec, exec, s[42:43]
.LBB2_461:                              ;   in Loop: Header=BB2_401 Depth=1
	s_andn2_saveexec_b64 vcc, s[40:41]
	s_cbranch_execz .LBB2_463
; %bb.462:                              ;   in Loop: Header=BB2_401 Depth=1
	s_waitcnt vmcnt(0) lgkmcnt(0)
	buffer_wbinvl1_vol
	s_barrier
.LBB2_463:                              ;   in Loop: Header=BB2_401 Depth=1
	s_or_b64 exec, exec, vcc
.LBB2_464:                              ;   in Loop: Header=BB2_401 Depth=1
	s_or_b64 exec, exec, s[20:21]
	s_trap 2
	ds_read_b64 v[22:23], v0
	s_waitcnt lgkmcnt(0)
	v_readfirstlane_b32 s20, v22
	v_readfirstlane_b32 s21, v23
	s_cmp_eq_u64 s[20:21], 0
	s_cselect_b64 s[20:21], -1, 0
	s_or_b64 vcc, s[20:21], s[20:21]
	s_mov_b64 s[20:21], 0
	s_and_b64 vcc, exec, vcc
	s_cbranch_vccnz .LBB2_491
; %bb.465:                              ;   in Loop: Header=BB2_401 Depth=1
	s_mov_b64 s[20:21], -1
	s_and_saveexec_b64 s[40:41], s[14:15]
	s_cbranch_execz .LBB2_467
; %bb.466:                              ;   in Loop: Header=BB2_401 Depth=1
	ds_read_b32 v12, v0 offset:720
	s_waitcnt lgkmcnt(0)
	v_and_b32_e32 v12, 15, v12
	v_cmp_eq_u32_e32 vcc, 0, v12
	s_orn2_b64 s[20:21], vcc, exec
.LBB2_467:                              ;   in Loop: Header=BB2_401 Depth=1
	s_or_b64 exec, exec, s[40:41]
	s_and_saveexec_b64 s[40:41], s[16:17]
	s_cbranch_execz .LBB2_469
; %bb.468:                              ;   in Loop: Header=BB2_401 Depth=1
	ds_read_b32 v12, v0 offset:784
	s_waitcnt lgkmcnt(0)
	v_and_b32_e32 v12, 15, v12
	v_cmp_eq_u32_e32 vcc, 0, v12
	s_and_b64 vcc, s[20:21], vcc
	s_andn2_b64 s[20:21], s[20:21], exec
	s_and_b64 vcc, vcc, exec
	s_or_b64 s[20:21], s[20:21], vcc
.LBB2_469:                              ;   in Loop: Header=BB2_401 Depth=1
	s_or_b64 exec, exec, s[40:41]
	v_cmp_eq_u32_e32 vcc, 0, v11
	s_xor_b64 s[20:21], s[20:21], -1
	v_cndmask_b32_e32 v21, 0, v42, vcc
	v_cndmask_b32_e64 v11, 0, 1, s[20:21]
	v_mov_b32_e32 v26, 0
	v_lshlrev_b32_e32 v43, 1, v21
	s_mov_b64 s[42:43], -1
	;;#ASMSTART
	;;#ASMEND
	v_cmp_ne_u32_e32 vcc, 0, v11
	s_cbranch_vccz .LBB2_471
; %bb.470:                              ;   in Loop: Header=BB2_401 Depth=1
	v_mov_b32_e32 v27, v32
	s_and_saveexec_b64 s[20:21], s[42:43]
	s_cbranch_execnz .LBB2_482
	s_branch .LBB2_490
.LBB2_471:                              ;   in Loop: Header=BB2_401 Depth=1
	v_lshrrev_b32_e32 v12, 9, v21
	v_lshlrev_b32_e32 v11, 10, v12
	v_sub_u32_e32 v50, v43, v11
	v_cmp_lt_i32_e32 vcc, 15, v50
	v_sub_u32_e32 v26, v43, v14
	v_addc_co_u32_e64 v12, s[20:21], v12, v30, vcc
	v_cmp_lt_i32_e64 s[20:21], 15, v26
	s_and_saveexec_b64 s[40:41], s[20:21]
	s_cbranch_execz .LBB2_475
; %bb.472:                              ;   in Loop: Header=BB2_401 Depth=1
	s_trap 2
	ds_read_b64 v[22:23], v0
	s_mov_b64 s[42:43], 0
	v_pk_mov_b32 v[24:25], v[14:15], v[14:15] op_sel:[0,1]
.LBB2_473:                              ;   Parent Loop BB2_401 Depth=1
                                        ; =>  This Inner Loop Header: Depth=2
	s_waitcnt lgkmcnt(0)
	v_add_co_u32_e64 v56, s[20:21], v22, v24
	v_addc_co_u32_e64 v57, s[20:21], v23, v25, s[20:21]
	global_load_dwordx4 v[44:47], v[56:57], off glc slc
	v_add_co_u32_e64 v24, s[20:21], v24, v48
	v_sub_u32_e32 v26, v26, v31
	v_addc_co_u32_e64 v25, s[20:21], v25, v49, s[20:21]
	v_cmp_gt_i32_e64 s[20:21], 16, v26
	v_sub_u32_e32 v12, v12, v10
	s_or_b64 s[42:43], s[20:21], s[42:43]
	s_waitcnt vmcnt(0)
	v_mul_f16_e32 v27, v22, v44
	v_mul_f16_sdwa v51, v22, v44 dst_sel:WORD_1 dst_unused:UNUSED_PAD src0_sel:DWORD src1_sel:WORD_1
	v_mul_f16_e32 v44, v22, v45
	v_mul_f16_sdwa v45, v22, v45 dst_sel:WORD_1 dst_unused:UNUSED_PAD src0_sel:DWORD src1_sel:WORD_1
	;; [unrolled: 2-line block ×4, first 2 shown]
	v_or_b32_e32 v45, v45, v44
	v_or_b32_e32 v44, v51, v27
	;; [unrolled: 1-line block ×4, first 2 shown]
	global_store_dwordx4 v[56:57], v[44:47], off glc slc
	s_andn2_b64 exec, exec, s[42:43]
	s_cbranch_execnz .LBB2_473
; %bb.474:                              ;   in Loop: Header=BB2_401 Depth=1
	s_or_b64 exec, exec, s[42:43]
	v_accvgpr_read_b32 v59, a7
	v_accvgpr_read_b32 v56, a2
	;; [unrolled: 1-line block ×3, first 2 shown]
.LBB2_475:                              ;   in Loop: Header=BB2_401 Depth=1
	s_or_b64 exec, exec, s[40:41]
	v_and_b32_e32 v22, 14, v43
	v_cndmask_b32_e32 v24, v50, v22, vcc
	v_cmp_ne_u32_e64 s[20:21], 0, v24
	s_mov_b64 s[42:43], 0
	v_mov_b32_e32 v26, 0
                                        ; implicit-def: $vgpr43
                                        ; implicit-def: $vgpr27
	s_and_saveexec_b64 s[40:41], s[20:21]
	s_cbranch_execz .LBB2_481
; %bb.476:                              ;   in Loop: Header=BB2_401 Depth=1
	v_sub_u32_e32 v22, v50, v22
	v_cndmask_b32_e32 v22, 0, v22, vcc
	v_cmp_lt_i32_e32 vcc, 0, v12
	v_add_u32_e32 v25, v22, v11
	v_cndmask_b32_e32 v11, 0, v10, vcc
	v_sub_u32_e32 v11, v11, v12
	v_lshl_add_u32 v11, v11, 6, v3
	v_ashrrev_i32_e32 v12, 31, v11
	v_lshrrev_b32_e32 v12, 26, v12
	v_add_u32_e32 v12, v11, v12
	v_ashrrev_i32_e32 v22, 6, v12
	v_and_b32_e32 v12, 0xffffffc0, v12
	v_sub_u32_e32 v27, v11, v12
	v_ashrrev_i32_e32 v12, 31, v24
	v_lshrrev_b32_e32 v12, 22, v12
	v_add_u32_e32 v12, v24, v12
	v_and_b32_e32 v26, 0xfffffc00, v12
	v_lshlrev_b32_e32 v11, 4, v27
	v_sub_u32_e32 v50, v24, v26
	v_lshl_add_u32 v11, v22, 10, v11
	v_ashrrev_i32_e32 v23, 10, v12
	v_cmp_lt_i32_e32 vcc, 15, v50
	v_sub_u32_e32 v43, v24, v11
	v_addc_co_u32_e64 v12, s[20:21], 0, v23, vcc
	v_sub_u32_e32 v51, v12, v22
	v_cmp_lt_i32_e64 s[20:21], 15, v43
	s_and_saveexec_b64 s[42:43], s[20:21]
	s_cbranch_execz .LBB2_480
; %bb.477:                              ;   in Loop: Header=BB2_401 Depth=1
	s_trap 2
	ds_read_b64 v[22:23], v0
	v_accvgpr_write_b32 a8, v60
	v_add_u32_e32 v12, v11, v25
	v_accvgpr_write_b32 a9, v61
	v_ashrrev_i32_e32 v11, 31, v12
	s_mov_b64 s[44:45], 0
.LBB2_478:                              ;   Parent Loop BB2_401 Depth=1
                                        ; =>  This Inner Loop Header: Depth=2
	s_waitcnt lgkmcnt(0)
	v_add_co_u32_e64 v56, s[20:21], v22, v12
	v_addc_co_u32_e64 v57, s[20:21], v23, v11, s[20:21]
	global_load_dwordx4 v[44:47], v[56:57], off glc slc
	v_add_co_u32_e64 v12, s[20:21], v12, v48
	v_sub_u32_e32 v43, v43, v31
	v_addc_co_u32_e64 v11, s[20:21], v11, v49, s[20:21]
	v_cmp_gt_i32_e64 s[20:21], 16, v43
	v_sub_u32_e32 v51, v51, v10
	s_or_b64 s[44:45], s[20:21], s[44:45]
	s_waitcnt vmcnt(0)
	v_mul_f16_e32 v58, v22, v44
	v_mul_f16_sdwa v44, v22, v44 dst_sel:WORD_1 dst_unused:UNUSED_PAD src0_sel:DWORD src1_sel:WORD_1
	v_mul_f16_e32 v59, v22, v45
	v_mul_f16_sdwa v45, v22, v45 dst_sel:WORD_1 dst_unused:UNUSED_PAD src0_sel:DWORD src1_sel:WORD_1
	;; [unrolled: 2-line block ×4, first 2 shown]
	v_or_b32_e32 v45, v45, v59
	v_or_b32_e32 v44, v44, v58
	;; [unrolled: 1-line block ×4, first 2 shown]
	global_store_dwordx4 v[56:57], v[44:47], off glc slc
	s_andn2_b64 exec, exec, s[44:45]
	s_cbranch_execnz .LBB2_478
; %bb.479:                              ;   in Loop: Header=BB2_401 Depth=1
	s_or_b64 exec, exec, s[44:45]
	v_accvgpr_read_b32 v59, a7
	v_accvgpr_read_b32 v61, a9
	;; [unrolled: 1-line block ×5, first 2 shown]
.LBB2_480:                              ;   in Loop: Header=BB2_401 Depth=1
	s_or_b64 exec, exec, s[42:43]
	v_and_b32_e32 v11, 14, v24
	v_sub_u32_e32 v12, v50, v11
	v_cndmask_b32_e32 v12, 0, v12, vcc
	v_cndmask_b32_e32 v43, v50, v11, vcc
	v_cmp_lt_i32_e32 vcc, 0, v51
	v_cndmask_b32_e32 v11, 0, v10, vcc
	v_sub_u32_e32 v11, v11, v51
	v_cmp_ne_u32_e32 vcc, 0, v43
	v_add3_u32 v26, v26, v25, v12
	v_lshl_add_u32 v27, v11, 6, v27
	s_and_b64 s[42:43], vcc, exec
.LBB2_481:                              ;   in Loop: Header=BB2_401 Depth=1
	s_or_b64 exec, exec, s[40:41]
	s_and_saveexec_b64 s[20:21], s[42:43]
	s_cbranch_execz .LBB2_490
.LBB2_482:                              ;   in Loop: Header=BB2_401 Depth=1
	v_ashrrev_i32_e32 v11, 31, v27
	v_ashrrev_i32_e32 v12, 31, v43
	v_lshrrev_b32_e32 v11, 26, v11
	v_lshrrev_b32_e32 v12, 23, v12
	v_add_u32_e32 v11, v27, v11
	v_add_u32_e32 v12, v43, v12
	v_ashrrev_i32_e32 v44, 6, v11
	v_ashrrev_i32_e32 v46, 9, v12
	v_sub_u32_e32 v45, v46, v44
	v_cmp_lt_i32_e32 vcc, 0, v45
	s_and_saveexec_b64 s[40:41], vcc
	s_cbranch_execz .LBB2_486
; %bb.483:                              ;   in Loop: Header=BB2_401 Depth=1
	s_trap 2
	ds_read_b64 v[22:23], v0
	v_and_b32_e32 v11, 0x7fffffc0, v11
	v_sub_u32_e32 v11, v27, v11
	v_lshlrev_b32_e32 v11, 1, v11
	v_lshlrev_b32_e32 v12, 9, v44
	v_add3_u32 v12, v11, v26, v12
	v_ashrrev_i32_e32 v11, 31, v12
	s_mov_b64 s[42:43], 0
	s_waitcnt lgkmcnt(0)
	v_pk_mov_b32 v[24:25], v[22:23], v[22:23] op_sel:[0,1]
	v_pk_mov_b32 v[50:51], v[22:23], v[22:23] op_sel:[0,1]
.LBB2_484:                              ;   Parent Loop BB2_401 Depth=1
                                        ; =>  This Inner Loop Header: Depth=2
	v_add_co_u32_e32 v56, vcc, v12, v50
	v_addc_co_u32_e32 v57, vcc, v11, v51, vcc
	flat_load_ushort v23, v[56:57] glc slc
	flat_load_ushort v47, v[56:57] offset:128 glc slc
	flat_load_ushort v58, v[56:57] offset:256 glc slc
	;; [unrolled: 1-line block ×3, first 2 shown]
	v_add_co_u32_e32 v56, vcc, v12, v24
	v_addc_co_u32_e32 v57, vcc, v11, v25, vcc
	v_add_co_u32_e32 v50, vcc, v50, v52
	v_addc_co_u32_e32 v51, vcc, v51, v53, vcc
	v_add_co_u32_e32 v24, vcc, v24, v52
	v_sub_u32_e32 v45, v45, v10
	v_addc_co_u32_e32 v25, vcc, v25, v53, vcc
	v_cmp_gt_i32_e32 vcc, 1, v45
	s_or_b64 s[42:43], vcc, s[42:43]
	s_waitcnt vmcnt(0) lgkmcnt(0)
	v_mul_f16_e32 v23, v23, v22
	v_mul_f16_e32 v47, v47, v22
	;; [unrolled: 1-line block ×4, first 2 shown]
	flat_store_short v[56:57], v23 glc slc
	flat_store_short v[56:57], v47 offset:128 glc slc
	flat_store_short v[56:57], v58 offset:256 glc slc
	;; [unrolled: 1-line block ×3, first 2 shown]
	s_andn2_b64 exec, exec, s[42:43]
	s_cbranch_execnz .LBB2_484
; %bb.485:                              ;   in Loop: Header=BB2_401 Depth=1
	s_or_b64 exec, exec, s[42:43]
	v_accvgpr_read_b32 v59, a7
	v_accvgpr_read_b32 v56, a2
	;; [unrolled: 1-line block ×3, first 2 shown]
.LBB2_486:                              ;   in Loop: Header=BB2_401 Depth=1
	s_or_b64 exec, exec, s[40:41]
	v_lshlrev_b32_e32 v11, 9, v46
	v_cmp_ne_u32_e32 vcc, v43, v11
	s_and_b64 exec, exec, vcc
	s_cbranch_execz .LBB2_490
; %bb.487:                              ;   in Loop: Header=BB2_401 Depth=1
	v_lshlrev_b32_e32 v12, 6, v44
	v_sub_u32_e32 v12, v27, v12
	v_lshlrev_b32_e32 v22, 6, v45
	v_sub_u32_e32 v12, v12, v22
	v_ashrrev_i32_e32 v22, 31, v12
	v_lshrrev_b32_e32 v22, 26, v22
	v_add_u32_e32 v22, v12, v22
	v_and_b32_e32 v23, 0x7fffffc0, v22
	v_sub_u32_e32 v12, v12, v23
	v_lshlrev_b32_e32 v22, 1, v22
	v_and_b32_e32 v22, 0xffffff80, v22
	v_lshlrev_b32_e32 v12, 1, v12
	v_add3_u32 v11, v22, v12, v11
	v_sub_u32_e32 v24, v43, v11
	v_cmp_lt_i32_e32 vcc, 1, v24
	s_and_b64 exec, exec, vcc
	s_cbranch_execz .LBB2_490
; %bb.488:                              ;   in Loop: Header=BB2_401 Depth=1
	s_trap 2
	ds_read_b64 v[22:23], v0
	v_add_u32_e32 v12, v11, v26
	v_ashrrev_i32_e32 v11, 31, v12
	s_mov_b64 s[40:41], 0
.LBB2_489:                              ;   Parent Loop BB2_401 Depth=1
                                        ; =>  This Inner Loop Header: Depth=2
	s_waitcnt lgkmcnt(0)
	v_add_co_u32_e32 v26, vcc, v22, v12
	v_addc_co_u32_e32 v27, vcc, v23, v11, vcc
	flat_load_ushort v25, v[26:27] glc slc
	v_add_co_u32_e32 v12, vcc, v12, v55
	v_sub_u32_e32 v24, v24, v54
	v_addc_co_u32_e32 v11, vcc, v11, v40, vcc
	v_cmp_gt_i32_e32 vcc, 2, v24
	s_or_b64 s[40:41], vcc, s[40:41]
	s_waitcnt vmcnt(0) lgkmcnt(0)
	v_mul_f16_e32 v25, v25, v22
	flat_store_short v[26:27], v25 glc slc
	s_andn2_b64 exec, exec, s[40:41]
	s_cbranch_execnz .LBB2_489
.LBB2_490:                              ;   in Loop: Header=BB2_401 Depth=1
	s_or_b64 exec, exec, s[20:21]
	v_cmp_ne_u32_e64 s[20:21], 0, v21
.LBB2_491:                              ;   in Loop: Header=BB2_401 Depth=1
	s_and_saveexec_b64 s[40:41], s[10:11]
	s_cbranch_execz .LBB2_510
; %bb.492:                              ;   in Loop: Header=BB2_401 Depth=1
	s_and_saveexec_b64 vcc, s[30:31]
	s_xor_b64 s[42:43], exec, vcc
	s_cbranch_execz .LBB2_507
; %bb.493:                              ;   in Loop: Header=BB2_401 Depth=1
	s_and_saveexec_b64 s[44:45], s[12:13]
	s_cbranch_execz .LBB2_506
; %bb.494:                              ;   in Loop: Header=BB2_401 Depth=1
	s_mov_b64 s[48:49], exec
	v_mbcnt_lo_u32_b32 v11, s48, 0
	v_mbcnt_hi_u32_b32 v11, s49, v11
	v_cmp_eq_u32_e32 vcc, 0, v11
	s_waitcnt vmcnt(0) lgkmcnt(0)
	buffer_wbinvl1_vol
	s_and_saveexec_b64 s[46:47], vcc
	s_cbranch_execz .LBB2_496
; %bb.495:                              ;   in Loop: Header=BB2_401 Depth=1
	s_bcnt1_i32_b64 vcc_lo, s[48:49]
	v_mov_b32_e32 v12, vcc_lo
	ds_add_u64 v0, v[12:13]
	s_trap 2
.LBB2_496:                              ;   in Loop: Header=BB2_401 Depth=1
	s_or_b64 exec, exec, s[46:47]
	s_trap 2
	ds_read_b64 v[22:23], v0
	v_add_co_u32_e32 v36, vcc, v36, v10
	v_addc_co_u32_e32 v37, vcc, 0, v37, vcc
	s_waitcnt lgkmcnt(0)
	v_cmp_lt_u64_e32 vcc, v[22:23], v[36:37]
	s_and_saveexec_b64 s[46:47], vcc
	s_cbranch_execz .LBB2_505
; %bb.497:                              ;   in Loop: Header=BB2_401 Depth=1
	s_mov_b32 s60, 0
	s_mov_b64 s[48:49], 0
                                        ; implicit-def: $sgpr50_sgpr51
                                        ; implicit-def: $sgpr52_sgpr53
	s_branch .LBB2_499
.LBB2_498:                              ;   in Loop: Header=BB2_499 Depth=2
	s_or_b64 exec, exec, s[56:57]
	s_and_b64 vcc, exec, vcc
	s_or_b64 s[48:49], vcc, s[48:49]
	s_andn2_b64 vcc, s[50:51], exec
	s_and_b64 s[50:51], s[52:53], exec
	s_or_b64 s[50:51], vcc, s[50:51]
	s_andn2_b64 exec, exec, s[48:49]
	s_cbranch_execz .LBB2_503
.LBB2_499:                              ;   Parent Loop BB2_401 Depth=1
                                        ; =>  This Inner Loop Header: Depth=2
	s_add_i32 s60, s60, 1
	s_cmpk_lg_i32 s60, 0x2710
	s_cselect_b64 s[54:55], -1, 0
	s_and_b64 vcc, exec, s[54:55]
                                        ; implicit-def: $sgpr56_sgpr57
	s_cbranch_vccnz .LBB2_501
; %bb.500:                              ;   in Loop: Header=BB2_499 Depth=2
	s_trap 2
	ds_read_b64 v[22:23], v0
	s_andn2_b64 s[54:55], s[54:55], exec
	s_mov_b32 s60, 0
	s_mov_b64 s[56:57], -1
	s_waitcnt lgkmcnt(0)
	flat_load_dword v11, v[22:23] glc
	s_waitcnt vmcnt(0) lgkmcnt(0)
	buffer_invl2
	buffer_wbinvl1_vol
	v_cmp_eq_u32_e32 vcc, 0, v11
	s_and_b64 vcc, vcc, exec
	s_or_b64 s[54:55], s[54:55], vcc
.LBB2_501:                              ;   in Loop: Header=BB2_499 Depth=2
	s_andn2_b64 s[52:53], s[52:53], exec
	s_and_b64 s[56:57], s[56:57], exec
	s_mov_b64 vcc, -1
	s_or_b64 s[52:53], s[52:53], s[56:57]
	s_and_saveexec_b64 s[56:57], s[54:55]
	s_cbranch_execz .LBB2_498
; %bb.502:                              ;   in Loop: Header=BB2_499 Depth=2
	s_sleep 1
	s_trap 2
	ds_read_b64 v[22:23], v0
	s_andn2_b64 s[52:53], s[52:53], exec
	s_waitcnt lgkmcnt(0)
	v_cmp_ge_u64_e32 vcc, v[22:23], v[36:37]
	s_orn2_b64 vcc, vcc, exec
	s_branch .LBB2_498
.LBB2_503:                              ;   in Loop: Header=BB2_401 Depth=1
	s_or_b64 exec, exec, s[48:49]
	s_and_saveexec_b64 vcc, s[50:51]
	s_xor_b64 vcc, exec, vcc
	s_cbranch_execz .LBB2_505
; %bb.504:                              ;   in Loop: Header=BB2_401 Depth=1
	ds_write_b32 v0, v41
	s_trap 2
.LBB2_505:                              ;   in Loop: Header=BB2_401 Depth=1
	s_or_b64 exec, exec, s[46:47]
	;;#ASMSTART
	s_wakeup
	;;#ASMEND
.LBB2_506:                              ;   in Loop: Header=BB2_401 Depth=1
	s_or_b64 exec, exec, s[44:45]
.LBB2_507:                              ;   in Loop: Header=BB2_401 Depth=1
	s_andn2_saveexec_b64 vcc, s[42:43]
	s_cbranch_execz .LBB2_509
; %bb.508:                              ;   in Loop: Header=BB2_401 Depth=1
	s_waitcnt vmcnt(0) lgkmcnt(0)
	buffer_wbinvl1_vol
	s_barrier
.LBB2_509:                              ;   in Loop: Header=BB2_401 Depth=1
	s_or_b64 exec, exec, vcc
.LBB2_510:                              ;   in Loop: Header=BB2_401 Depth=1
	s_or_b64 exec, exec, s[40:41]
	v_and_b32_e32 v11, 16, v2
	v_cmp_ne_u32_e32 vcc, 0, v11
	s_and_b64 vcc, vcc, s[20:21]
	s_and_saveexec_b64 s[20:21], vcc
	s_cbranch_execz .LBB2_512
; %bb.511:                              ;   in Loop: Header=BB2_401 Depth=1
	s_waitcnt vmcnt(0) lgkmcnt(0)
	buffer_wbinvl1_vol
.LBB2_512:                              ;   in Loop: Header=BB2_401 Depth=1
	s_or_b64 exec, exec, s[20:21]
	v_cmp_ne_u32_e32 vcc, 0, v11
	s_and_saveexec_b64 s[20:21], vcc
	s_cbranch_execz .LBB2_516
; %bb.513:                              ;   in Loop: Header=BB2_401 Depth=1
	s_and_saveexec_b64 vcc, s[18:19]
	s_cbranch_execz .LBB2_515
; %bb.514:                              ;   in Loop: Header=BB2_401 Depth=1
	flat_store_dword v[60:61], v41
.LBB2_515:                              ;   in Loop: Header=BB2_401 Depth=1
	s_or_b64 exec, exec, vcc
	v_add_co_u32_e32 v8, vcc, 1, v8
	v_addc_co_u32_e32 v9, vcc, 0, v9, vcc
	flat_store_dwordx2 v[28:29], v[8:9]
.LBB2_516:                              ;   in Loop: Header=BB2_401 Depth=1
	s_or_b64 exec, exec, s[20:21]
	v_mov_b32_e32 v11, v42
.LBB2_517:                              ;   in Loop: Header=BB2_401 Depth=1
	s_or_b64 exec, exec, s[38:39]
	s_and_saveexec_b64 s[38:39], s[36:37]
	s_cbranch_execz .LBB2_400
; %bb.518:                              ;   in Loop: Header=BB2_401 Depth=1
	v_and_b32_e32 v12, 8, v2
	v_cmp_ne_u32_e32 vcc, 0, v12
	s_mov_b64 s[36:37], -1
	s_and_saveexec_b64 s[20:21], vcc
	s_cbranch_execz .LBB2_530
; %bb.519:                              ;   in Loop: Header=BB2_401 Depth=1
	v_add_co_u32_e32 v24, vcc, 8, v34
	v_addc_co_u32_e32 v25, vcc, 0, v35, vcc
	v_add_co_u32_e32 v22, vcc, 1, v8
	v_addc_co_u32_e32 v23, vcc, 0, v9, vcc
	v_cmp_lt_u64_e32 vcc, v[24:25], v[22:23]
	v_mov_b32_e32 v12, 1
	s_and_saveexec_b64 s[36:37], vcc
	s_cbranch_execz .LBB2_529
; %bb.520:                              ;   in Loop: Header=BB2_401 Depth=1
	s_mov_b64 s[40:41], 0
	v_mov_b32_e32 v12, 0
                                        ; implicit-def: $sgpr42_sgpr43
	s_branch .LBB2_524
.LBB2_521:                              ;   in Loop: Header=BB2_524 Depth=2
	s_or_b64 exec, exec, s[50:51]
	v_mov_b32_e32 v21, 0
	s_orn2_b64 s[48:49], s[48:49], exec
.LBB2_522:                              ;   in Loop: Header=BB2_524 Depth=2
	s_or_b64 exec, exec, s[46:47]
	s_andn2_b64 vcc, s[42:43], exec
	s_and_b64 s[42:43], s[48:49], exec
	s_or_b64 s[42:43], vcc, s[42:43]
	v_mov_b32_e32 v12, v21
.LBB2_523:                              ;   in Loop: Header=BB2_524 Depth=2
	s_or_b64 exec, exec, s[44:45]
	s_waitcnt vmcnt(0) lgkmcnt(0)
	v_add_co_u32_e32 v24, vcc, 8, v34
	v_addc_co_u32_e32 v25, vcc, 0, v35, vcc
	v_cmp_ge_u64_e32 vcc, v[24:25], v[22:23]
	s_xor_b64 s[44:45], s[42:43], -1
	s_or_b64 vcc, s[44:45], vcc
	s_and_b64 vcc, exec, vcc
	s_or_b64 s[40:41], vcc, s[40:41]
	s_andn2_b64 exec, exec, s[40:41]
	s_cbranch_execz .LBB2_528
.LBB2_524:                              ;   Parent Loop BB2_401 Depth=1
                                        ; =>  This Inner Loop Header: Depth=2
	s_sleep 1
	flat_load_dwordx2 v[34:35], v[28:29] glc
	v_and_b32_e32 v21, 64, v2
	v_cmp_eq_u32_e32 vcc, 0, v21
	s_andn2_b64 s[42:43], s[42:43], exec
	s_and_saveexec_b64 s[44:45], vcc
	s_cbranch_execz .LBB2_523
; %bb.525:                              ;   in Loop: Header=BB2_524 Depth=2
	v_add_u32_e32 v21, 1, v12
	v_cmp_lt_i32_e32 vcc, s59, v12
	s_mov_b64 s[48:49], -1
	s_and_saveexec_b64 s[46:47], vcc
	s_cbranch_execz .LBB2_522
; %bb.526:                              ;   in Loop: Header=BB2_524 Depth=2
	s_trap 2
	ds_read_b64 v[24:25], v0
	s_waitcnt vmcnt(0) lgkmcnt(0)
	flat_load_dword v12, v[24:25] glc
	s_waitcnt vmcnt(0) lgkmcnt(0)
	buffer_invl2
	buffer_wbinvl1_vol
	v_cmp_ne_u32_e32 vcc, 0, v12
	s_and_saveexec_b64 s[50:51], vcc
	s_cbranch_execz .LBB2_521
; %bb.527:                              ;   in Loop: Header=BB2_524 Depth=2
	v_or_b32_e32 v2, 64, v2
	s_xor_b64 s[48:49], exec, -1
	ds_write_b32 v0, v12
	s_trap 2
	s_branch .LBB2_521
.LBB2_528:                              ;   in Loop: Header=BB2_401 Depth=1
	s_or_b64 exec, exec, s[40:41]
	v_and_b32_e32 v12, 8, v2
.LBB2_529:                              ;   in Loop: Header=BB2_401 Depth=1
	s_or_b64 exec, exec, s[36:37]
	v_cmp_eq_u32_e32 vcc, 0, v12
	s_orn2_b64 s[36:37], vcc, exec
	;;#ASMSTART
	s_wakeup
	;;#ASMEND
.LBB2_530:                              ;   in Loop: Header=BB2_401 Depth=1
	s_or_b64 exec, exec, s[20:21]
	v_sub_u32_e32 v11, v20, v11
	s_xor_b64 s[20:21], s[36:37], -1
	v_min_i32_e32 v20, v42, v11
	s_and_saveexec_b64 s[36:37], s[20:21]
	s_cbranch_execz .LBB2_540
; %bb.531:                              ;   in Loop: Header=BB2_401 Depth=1
	v_and_b32_e32 v11, 0x100, v2
	v_cmp_ne_u32_e32 vcc, 0, v11
	v_and_b32_e32 v11, 7, v8
	s_mov_b64 s[20:21], -1
                                        ; implicit-def: $vgpr22_vgpr23
	s_and_saveexec_b64 s[40:41], vcc
	s_cbranch_execz .LBB2_535
; %bb.532:                              ;   in Loop: Header=BB2_401 Depth=1
	v_mad_u64_u32 v[24:25], s[20:21], v11, 24, v[6:7]
	flat_load_dword v12, v[24:25]
	v_ashrrev_i32_e32 v21, 31, v20
	v_lshlrev_b64 v[22:23], 1, v[20:21]
	flat_store_dwordx2 v[24:25], v[22:23] offset:8
                                        ; implicit-def: $vgpr22_vgpr23
	s_waitcnt vmcnt(0) lgkmcnt(0)
	v_cmp_ne_u32_e32 vcc, 1, v12
	v_cmp_eq_u32_e64 s[20:21], 1, v12
	s_and_saveexec_b64 s[42:43], s[20:21]
	s_cbranch_execz .LBB2_534
; %bb.533:                              ;   in Loop: Header=BB2_401 Depth=1
	flat_load_dword v22, v[24:25] offset:4 glc
	s_waitcnt vmcnt(0) lgkmcnt(0)
	v_ashrrev_i32_e32 v23, 31, v22
	v_lshrrev_b64 v[22:23], 1, v[22:23]
.LBB2_534:                              ;   in Loop: Header=BB2_401 Depth=1
	s_or_b64 exec, exec, s[42:43]
	s_orn2_b64 s[20:21], vcc, exec
.LBB2_535:                              ;   in Loop: Header=BB2_401 Depth=1
	s_or_b64 exec, exec, s[40:41]
	s_and_saveexec_b64 vcc, s[20:21]
; %bb.536:                              ;   in Loop: Header=BB2_401 Depth=1
	v_mad_i64_i32 v[22:23], s[20:21], v11, v56, 0
; %bb.537:                              ;   in Loop: Header=BB2_401 Depth=1
	s_or_b64 exec, exec, vcc
	v_lshlrev_b64 v[22:23], 1, v[22:23]
	v_add_co_u32_e32 v22, vcc, v58, v22
	v_addc_co_u32_e32 v23, vcc, v59, v23, vcc
	v_and_b32_e32 v11, 0x2000, v2
	v_cmp_ne_u32_e32 vcc, 0, v11
	ds_write_b64 v0, v[22:23] offset:784
	s_and_saveexec_b64 s[20:21], vcc
	s_cbranch_execz .LBB2_539
; %bb.538:                              ;   in Loop: Header=BB2_401 Depth=1
	ds_read_b64 v[22:23], v0 offset:584
	s_waitcnt lgkmcnt(0)
	v_add_co_u32_e32 v22, vcc, 1, v22
	v_addc_co_u32_e32 v23, vcc, 0, v23, vcc
	ds_write_b64 v0, v[22:23] offset:584
.LBB2_539:                              ;   in Loop: Header=BB2_401 Depth=1
	s_or_b64 exec, exec, s[20:21]
	v_add_co_u32_e32 v8, vcc, 1, v8
	v_addc_co_u32_e32 v9, vcc, 0, v9, vcc
.LBB2_540:                              ;   in Loop: Header=BB2_401 Depth=1
	s_or_b64 exec, exec, s[36:37]
	s_and_saveexec_b64 s[20:21], s[10:11]
	s_cbranch_execz .LBB2_559
; %bb.541:                              ;   in Loop: Header=BB2_401 Depth=1
	s_and_saveexec_b64 vcc, s[30:31]
	s_xor_b64 s[36:37], exec, vcc
	s_cbranch_execz .LBB2_556
; %bb.542:                              ;   in Loop: Header=BB2_401 Depth=1
	s_and_saveexec_b64 s[40:41], s[12:13]
	s_cbranch_execz .LBB2_555
; %bb.543:                              ;   in Loop: Header=BB2_401 Depth=1
	s_mov_b64 s[44:45], exec
	v_mbcnt_lo_u32_b32 v11, s44, 0
	v_mbcnt_hi_u32_b32 v11, s45, v11
	v_cmp_eq_u32_e32 vcc, 0, v11
	s_waitcnt vmcnt(0) lgkmcnt(0)
	buffer_wbinvl1_vol
	s_and_saveexec_b64 s[42:43], vcc
	s_cbranch_execz .LBB2_545
; %bb.544:                              ;   in Loop: Header=BB2_401 Depth=1
	s_bcnt1_i32_b64 vcc_lo, s[44:45]
	v_mov_b32_e32 v12, vcc_lo
	ds_add_u64 v0, v[12:13]
	s_trap 2
.LBB2_545:                              ;   in Loop: Header=BB2_401 Depth=1
	s_or_b64 exec, exec, s[42:43]
	s_trap 2
	ds_read_b64 v[22:23], v0
	v_add_co_u32_e32 v36, vcc, v36, v10
	v_addc_co_u32_e32 v37, vcc, 0, v37, vcc
	s_waitcnt lgkmcnt(0)
	v_cmp_lt_u64_e32 vcc, v[22:23], v[36:37]
	s_and_saveexec_b64 s[42:43], vcc
	s_cbranch_execz .LBB2_554
; %bb.546:                              ;   in Loop: Header=BB2_401 Depth=1
	s_mov_b32 s54, 0
	s_mov_b64 s[44:45], 0
                                        ; implicit-def: $sgpr46_sgpr47
                                        ; implicit-def: $sgpr48_sgpr49
	s_branch .LBB2_548
.LBB2_547:                              ;   in Loop: Header=BB2_548 Depth=2
	s_or_b64 exec, exec, s[52:53]
	s_and_b64 vcc, exec, vcc
	s_or_b64 s[44:45], vcc, s[44:45]
	s_andn2_b64 vcc, s[46:47], exec
	s_and_b64 s[46:47], s[48:49], exec
	s_or_b64 s[46:47], vcc, s[46:47]
	s_andn2_b64 exec, exec, s[44:45]
	s_cbranch_execz .LBB2_552
.LBB2_548:                              ;   Parent Loop BB2_401 Depth=1
                                        ; =>  This Inner Loop Header: Depth=2
	s_add_i32 s54, s54, 1
	s_cmpk_lg_i32 s54, 0x2710
	s_cselect_b64 s[50:51], -1, 0
	s_and_b64 vcc, exec, s[50:51]
                                        ; implicit-def: $sgpr52_sgpr53
	s_cbranch_vccnz .LBB2_550
; %bb.549:                              ;   in Loop: Header=BB2_548 Depth=2
	s_trap 2
	ds_read_b64 v[22:23], v0
	s_andn2_b64 s[50:51], s[50:51], exec
	s_mov_b32 s54, 0
	s_mov_b64 s[52:53], -1
	s_waitcnt lgkmcnt(0)
	flat_load_dword v11, v[22:23] glc
	s_waitcnt vmcnt(0) lgkmcnt(0)
	buffer_invl2
	buffer_wbinvl1_vol
	v_cmp_eq_u32_e32 vcc, 0, v11
	s_and_b64 vcc, vcc, exec
	s_or_b64 s[50:51], s[50:51], vcc
.LBB2_550:                              ;   in Loop: Header=BB2_548 Depth=2
	s_andn2_b64 s[48:49], s[48:49], exec
	s_and_b64 s[52:53], s[52:53], exec
	s_mov_b64 vcc, -1
	s_or_b64 s[48:49], s[48:49], s[52:53]
	s_and_saveexec_b64 s[52:53], s[50:51]
	s_cbranch_execz .LBB2_547
; %bb.551:                              ;   in Loop: Header=BB2_548 Depth=2
	s_sleep 1
	s_trap 2
	ds_read_b64 v[22:23], v0
	s_andn2_b64 s[48:49], s[48:49], exec
	s_waitcnt lgkmcnt(0)
	v_cmp_ge_u64_e32 vcc, v[22:23], v[36:37]
	s_orn2_b64 vcc, vcc, exec
	s_branch .LBB2_547
.LBB2_552:                              ;   in Loop: Header=BB2_401 Depth=1
	s_or_b64 exec, exec, s[44:45]
	s_and_saveexec_b64 vcc, s[46:47]
	s_xor_b64 vcc, exec, vcc
	s_cbranch_execz .LBB2_554
; %bb.553:                              ;   in Loop: Header=BB2_401 Depth=1
	ds_write_b32 v0, v41
	s_trap 2
.LBB2_554:                              ;   in Loop: Header=BB2_401 Depth=1
	s_or_b64 exec, exec, s[42:43]
	;;#ASMSTART
	s_wakeup
	;;#ASMEND
.LBB2_555:                              ;   in Loop: Header=BB2_401 Depth=1
	s_or_b64 exec, exec, s[40:41]
.LBB2_556:                              ;   in Loop: Header=BB2_401 Depth=1
	s_andn2_saveexec_b64 vcc, s[36:37]
	s_cbranch_execz .LBB2_558
; %bb.557:                              ;   in Loop: Header=BB2_401 Depth=1
	s_waitcnt vmcnt(0) lgkmcnt(0)
	buffer_wbinvl1_vol
	s_barrier
.LBB2_558:                              ;   in Loop: Header=BB2_401 Depth=1
	s_or_b64 exec, exec, vcc
.LBB2_559:                              ;   in Loop: Header=BB2_401 Depth=1
	s_or_b64 exec, exec, s[20:21]
	s_trap 2
	ds_read_b32 v12, v0
	v_cmp_lt_i32_e32 vcc, 0, v20
	v_and_b32_e32 v11, 16, v2
	s_waitcnt lgkmcnt(0)
	v_readfirstlane_b32 s20, v12
	s_cmp_eq_u32 s20, 0
	s_cselect_b64 s[20:21], -1, 0
	s_and_b64 s[20:21], vcc, s[20:21]
	v_cmp_ne_u32_e32 vcc, 0, v11
	s_and_b64 vcc, vcc, s[20:21]
	s_and_saveexec_b64 s[20:21], vcc
	s_cbranch_execz .LBB2_561
; %bb.560:                              ;   in Loop: Header=BB2_401 Depth=1
	s_waitcnt vmcnt(0)
	buffer_wbinvl1_vol
.LBB2_561:                              ;   in Loop: Header=BB2_401 Depth=1
	s_or_b64 exec, exec, s[20:21]
	v_cmp_ne_u32_e32 vcc, 0, v11
	s_and_saveexec_b64 s[20:21], vcc
	s_cbranch_execz .LBB2_399
; %bb.562:                              ;   in Loop: Header=BB2_401 Depth=1
	s_and_saveexec_b64 vcc, s[18:19]
	s_cbranch_execz .LBB2_398
; %bb.563:                              ;   in Loop: Header=BB2_401 Depth=1
	flat_store_dword v[60:61], v41
	s_branch .LBB2_398
.LBB2_564:
	s_or_b64 exec, exec, s[28:29]
	v_accvgpr_read_b32 v27, a1
	v_mov_b32_e32 v31, v0
	v_mov_b32_e32 v25, v1
	v_accvgpr_read_b32 v26, a0
.LBB2_565:
	s_or_b64 exec, exec, s[26:27]
.LBB2_566:
	s_or_b64 exec, exec, s[22:23]
	v_and_b32_e32 v0, 0x800, v2
	v_cmp_eq_u32_e32 vcc, 0, v0
	s_and_saveexec_b64 s[4:5], vcc
	s_cbranch_execz .LBB2_601
; %bb.567:
	v_and_b32_e32 v0, 48, v2
	v_cmp_ne_u32_e32 vcc, 0, v0
	s_and_saveexec_b64 s[6:7], vcc
	s_cbranch_execz .LBB2_569
; %bb.568:
	s_waitcnt vmcnt(0) lgkmcnt(0)
	flat_store_dwordx2 v[26:27], v[8:9] offset:104
.LBB2_569:
	s_or_b64 exec, exec, s[6:7]
	s_movk_i32 s6, 0x88
	v_and_b32_e32 v0, 0x88, v2
	v_cmp_eq_u32_e32 vcc, s6, v0
	s_and_saveexec_b64 s[6:7], vcc
	s_cbranch_execz .LBB2_581
; %bb.570:
	s_waitcnt vmcnt(0) lgkmcnt(0)
	v_add_u32_e32 v0, -1, v8
	v_and_b32_e32 v0, 7, v0
	v_mad_u64_u32 v[4:5], s[10:11], v0, 24, v[6:7]
	v_add_co_u32_e32 v4, vcc, 8, v4
	v_addc_co_u32_e32 v5, vcc, 0, v5, vcc
	s_mov_b64 s[10:11], 0
	v_mov_b32_e32 v0, 0
	s_movk_i32 s26, 0x270e
                                        ; implicit-def: $sgpr12_sgpr13
	s_branch .LBB2_575
.LBB2_571:                              ;   in Loop: Header=BB2_575 Depth=1
	s_or_b64 exec, exec, s[22:23]
	v_mov_b32_e32 v3, 0
	s_orn2_b64 s[20:21], s[20:21], exec
.LBB2_572:                              ;   in Loop: Header=BB2_575 Depth=1
	s_or_b64 exec, exec, s[18:19]
	s_and_b64 s[18:19], s[20:21], exec
	v_mov_b32_e32 v0, v3
.LBB2_573:                              ;   in Loop: Header=BB2_575 Depth=1
	s_or_b64 exec, exec, s[16:17]
	s_xor_b64 s[16:17], s[18:19], -1
	s_andn2_b64 s[12:13], s[12:13], exec
	s_and_b64 s[16:17], s[16:17], exec
	s_or_b64 s[12:13], s[12:13], s[16:17]
.LBB2_574:                              ;   in Loop: Header=BB2_575 Depth=1
	s_or_b64 exec, exec, s[14:15]
	s_and_b64 s[14:15], exec, s[12:13]
	s_or_b64 s[10:11], s[14:15], s[10:11]
	s_andn2_b64 exec, exec, s[10:11]
	s_cbranch_execz .LBB2_580
.LBB2_575:                              ; =>This Inner Loop Header: Depth=1
	flat_load_dwordx2 v[6:7], v[4:5] glc
	s_waitcnt vmcnt(0)
	s_or_b64 s[12:13], s[12:13], exec
	s_waitcnt lgkmcnt(0)
	v_cmp_ne_u64_e32 vcc, -1, v[6:7]
	s_and_saveexec_b64 s[14:15], vcc
	s_cbranch_execz .LBB2_574
; %bb.576:                              ;   in Loop: Header=BB2_575 Depth=1
	v_and_b32_e32 v1, 64, v2
	v_cmp_eq_u32_e32 vcc, 0, v1
	s_mov_b64 s[18:19], 0
	s_and_saveexec_b64 s[16:17], vcc
	s_cbranch_execz .LBB2_573
; %bb.577:                              ;   in Loop: Header=BB2_575 Depth=1
	v_add_u32_e32 v3, 1, v0
	v_cmp_lt_i32_e32 vcc, s26, v0
	s_mov_b64 s[20:21], -1
	s_and_saveexec_b64 s[18:19], vcc
	s_cbranch_execz .LBB2_572
; %bb.578:                              ;   in Loop: Header=BB2_575 Depth=1
	s_trap 2
	ds_read_b64 v[6:7], v0
	s_waitcnt lgkmcnt(0)
	flat_load_dword v0, v[6:7] glc
	s_waitcnt vmcnt(0) lgkmcnt(0)
	buffer_invl2
	buffer_wbinvl1_vol
	v_cmp_ne_u32_e32 vcc, 0, v0
	s_and_saveexec_b64 s[22:23], vcc
	s_cbranch_execz .LBB2_571
; %bb.579:                              ;   in Loop: Header=BB2_575 Depth=1
	v_or_b32_e32 v2, 64, v2
	s_xor_b64 s[20:21], exec, -1
	ds_write_b32 v0, v0
	s_trap 2
	s_branch .LBB2_571
.LBB2_580:
	s_or_b64 exec, exec, s[10:11]
.LBB2_581:
	s_or_b64 exec, exec, s[6:7]
	v_and_b32_e32 v0, 0x2000, v2
	v_cmp_ne_u32_e32 vcc, 0, v0
	s_and_saveexec_b64 s[6:7], vcc
	s_cbranch_execz .LBB2_583
; %bb.582:
	s_trap 2
	ds_read_b64 v[2:3], v0
	v_accvgpr_read_b32 v0, a4
	v_accvgpr_read_b32 v1, a5
	s_waitcnt lgkmcnt(0)
	flat_store_dwordx2 v[0:1], v[2:3] offset:16
.LBB2_583:
	s_or_b64 exec, exec, s[6:7]
	v_cmp_ne_u32_e32 vcc, 64, v62
	s_and_b64 exec, exec, vcc
	s_cbranch_execz .LBB2_601
; %bb.584:
	s_waitcnt vmcnt(0)
	v_cmp_ne_u32_sdwa s[6:7], v25, v62 src0_sel:WORD_0 src1_sel:DWORD
	s_and_saveexec_b64 s[10:11], s[6:7]
	s_xor_b64 s[6:7], exec, s[10:11]
	s_cbranch_execz .LBB2_599
; %bb.585:
	v_and_b32_e32 v0, 63, v31
	v_cmp_eq_u32_e32 vcc, 0, v0
	s_and_saveexec_b64 s[10:11], vcc
	s_cbranch_execz .LBB2_598
; %bb.586:
	s_mov_b64 s[14:15], exec
	v_mbcnt_lo_u32_b32 v0, s14, 0
	v_mbcnt_hi_u32_b32 v0, s15, v0
	v_cmp_eq_u32_e32 vcc, 0, v0
	s_waitcnt lgkmcnt(0)
	buffer_wbinvl1_vol
	s_and_saveexec_b64 s[12:13], vcc
	s_cbranch_execz .LBB2_588
; %bb.587:
	s_bcnt1_i32_b64 s14, s[14:15]
	v_mov_b32_e32 v2, s14
	v_mov_b32_e32 v3, 0
	ds_add_u64 v0, v[2:3]
	s_trap 2
.LBB2_588:
	s_or_b64 exec, exec, s[12:13]
	v_ashrrev_i32_e32 v0, 31, v62
	v_lshrrev_b32_e32 v0, 26, v0
	v_add_u32_e32 v0, v62, v0
	v_ashrrev_i32_e32 v0, 6, v0
	s_trap 2
	ds_read_b64 v[2:3], v0
	v_ashrrev_i32_e32 v1, 31, v0
	v_add_co_u32_e32 v0, vcc, v36, v0
	v_addc_co_u32_e32 v1, vcc, v37, v1, vcc
	s_waitcnt lgkmcnt(0)
	v_cmp_lt_u64_e32 vcc, v[2:3], v[0:1]
	s_and_saveexec_b64 s[12:13], vcc
	s_cbranch_execz .LBB2_597
; %bb.589:
	s_mov_b32 s28, 0
	s_mov_b64 s[14:15], 0
                                        ; implicit-def: $sgpr16_sgpr17
                                        ; implicit-def: $sgpr18_sgpr19
	s_branch .LBB2_591
.LBB2_590:                              ;   in Loop: Header=BB2_591 Depth=1
	s_or_b64 exec, exec, s[26:27]
	s_and_b64 s[20:21], exec, s[22:23]
	s_or_b64 s[14:15], s[20:21], s[14:15]
	s_andn2_b64 s[16:17], s[16:17], exec
	s_and_b64 s[20:21], s[18:19], exec
	s_or_b64 s[16:17], s[16:17], s[20:21]
	s_andn2_b64 exec, exec, s[14:15]
	s_cbranch_execz .LBB2_595
.LBB2_591:                              ; =>This Inner Loop Header: Depth=1
	s_add_i32 s28, s28, 1
	s_cmpk_lg_i32 s28, 0x2710
	s_cselect_b64 s[20:21], -1, 0
	s_and_b64 vcc, exec, s[20:21]
                                        ; implicit-def: $sgpr26_sgpr27
	s_cbranch_vccnz .LBB2_593
; %bb.592:                              ;   in Loop: Header=BB2_591 Depth=1
	s_trap 2
	ds_read_b64 v[2:3], v0
	s_andn2_b64 s[20:21], s[20:21], exec
	s_mov_b32 s28, 0
	s_mov_b64 s[26:27], -1
	s_waitcnt lgkmcnt(0)
	flat_load_dword v2, v[2:3] glc
	s_waitcnt vmcnt(0) lgkmcnt(0)
	buffer_invl2
	buffer_wbinvl1_vol
	v_cmp_eq_u32_e32 vcc, 0, v2
	s_and_b64 s[22:23], vcc, exec
	s_or_b64 s[20:21], s[20:21], s[22:23]
.LBB2_593:                              ;   in Loop: Header=BB2_591 Depth=1
	s_andn2_b64 s[18:19], s[18:19], exec
	s_and_b64 s[26:27], s[26:27], exec
	s_mov_b64 s[22:23], -1
	s_or_b64 s[18:19], s[18:19], s[26:27]
	s_and_saveexec_b64 s[26:27], s[20:21]
	s_cbranch_execz .LBB2_590
; %bb.594:                              ;   in Loop: Header=BB2_591 Depth=1
	s_sleep 1
	s_trap 2
	ds_read_b64 v[2:3], v0
	s_andn2_b64 s[18:19], s[18:19], exec
	s_waitcnt lgkmcnt(0)
	v_cmp_ge_u64_e32 vcc, v[2:3], v[0:1]
	s_orn2_b64 s[22:23], vcc, exec
	s_branch .LBB2_590
.LBB2_595:
	s_or_b64 exec, exec, s[14:15]
	s_and_saveexec_b64 s[14:15], s[16:17]
	s_xor_b64 s[14:15], exec, s[14:15]
	s_cbranch_execz .LBB2_597
; %bb.596:
	v_mov_b32_e32 v0, 1
	ds_write_b32 v0, v0
	s_trap 2
.LBB2_597:
	s_or_b64 exec, exec, s[12:13]
	;;#ASMSTART
	s_wakeup
	;;#ASMEND
.LBB2_598:
	s_or_b64 exec, exec, s[10:11]
.LBB2_599:
	s_andn2_saveexec_b64 s[6:7], s[6:7]
	s_cbranch_execz .LBB2_601
; %bb.600:
	s_waitcnt lgkmcnt(0)
	buffer_wbinvl1_vol
	s_barrier
.LBB2_601:
	s_or_b64 exec, exec, s[4:5]
.LBB2_602:
	s_andn2_saveexec_b64 s[26:27], s[24:25]
	s_cbranch_execz .LBB2_604
; %bb.603:
	s_getpc_b64 s[4:5]
	s_add_u32 s4, s4, __PRETTY_FUNCTION__._ZN10PrimitivesI6__half13FuncPreMulSumIS0_E12FanSymmetricILi1EELi0E11ProtoSimpleILi1ELi1ELi0ELi1ELi0ELi0EELi0ELb0ELi0ELi0ELi0EEC2EiiPKiS9_PKvPvmhhhP15ncclDevWorkCollP14ncclDevWorkP2pii@rel32@lo+4
	s_addc_u32 s5, s5, __PRETTY_FUNCTION__._ZN10PrimitivesI6__half13FuncPreMulSumIS0_E12FanSymmetricILi1EELi0E11ProtoSimpleILi1ELi1ELi0ELi1ELi0ELi0EELi0ELb0ELi0ELi0ELi0EEC2EiiPKiS9_PKvPvmhhhP15ncclDevWorkCollP14ncclDevWorkP2pii@rel32@hi+12
	v_mov_b32_e32 v0, s4
	v_mov_b32_e32 v1, s5
	s_getpc_b64 s[6:7]
	s_add_u32 s6, s6, __assert_fail@rel32@lo+4
	s_addc_u32 s7, s7, __assert_fail@rel32@hi+12
	s_swappc_b64 s[30:31], s[6:7]
	; divergent unreachable
.LBB2_604:
	s_or_b64 exec, exec, s[26:27]
	buffer_load_dword v62, off, s[0:3], s33 ; 4-byte Folded Reload
	s_waitcnt lgkmcnt(0)
	buffer_load_dword v61, off, s[0:3], s33 offset:4 ; 4-byte Folded Reload
	buffer_load_dword v60, off, s[0:3], s33 offset:8 ; 4-byte Folded Reload
	;; [unrolled: 1-line block ×9, first 2 shown]
	v_readlane_b32 s30, v63, 33
	v_readlane_b32 s31, v63, 34
	;; [unrolled: 1-line block ×35, first 2 shown]
	v_accvgpr_read_b32 v44, a31             ;  Reload Reuse
	v_accvgpr_read_b32 v43, a30             ;  Reload Reuse
	;; [unrolled: 1-line block ×5, first 2 shown]
	v_readlane_b32 s4, v63, 35
	s_or_saveexec_b64 s[6:7], -1
	buffer_load_dword v63, off, s[0:3], s33 offset:40 ; 4-byte Folded Reload
	s_mov_b64 exec, s[6:7]
	s_addk_i32 s32, 0xf400
	s_mov_b32 s33, s4
	s_waitcnt vmcnt(0)
	s_setpc_b64 s[30:31]
.Lfunc_end2:
	.size	_ZN12_GLOBAL__N_17runRingI6__half13FuncPreMulSumIS1_E11ProtoSimpleILi1ELi1ELi0ELi1ELi0ELi0EELi0ELi1ELi0EEEviiP15ncclDevWorkColl, .Lfunc_end2-_ZN12_GLOBAL__N_17runRingI6__half13FuncPreMulSumIS1_E11ProtoSimpleILi1ELi1ELi0ELi1ELi0ELi0EELi0ELi1ELi0EEEviiP15ncclDevWorkColl
                                        ; -- End function
	.section	.AMDGPU.csdata,"",@progbits
; Function info:
; codeLenInByte = 20012
; NumSgprs: 71
; NumVgprs: 64
; NumAgprs: 32
; TotalNumVgprs: 96
; ScratchSize: 112
; MemoryBound: 1
	.text
	.p2align	2                               ; -- Begin function _Z50ncclDevFunc_Reduce_RING_SIMPLE_PreMulSum_f16_0_0_1v
	.type	_Z50ncclDevFunc_Reduce_RING_SIMPLE_PreMulSum_f16_0_0_1v,@function
_Z50ncclDevFunc_Reduce_RING_SIMPLE_PreMulSum_f16_0_0_1v: ; @_Z50ncclDevFunc_Reduce_RING_SIMPLE_PreMulSum_f16_0_0_1v
; %bb.0:
	s_waitcnt vmcnt(0) expcnt(0) lgkmcnt(0)
	s_mov_b32 s4, s33
	s_mov_b32 s33, s32
	s_or_saveexec_b64 s[6:7], -1
	buffer_store_dword v43, off, s[0:3], s33 offset:16 ; 4-byte Folded Spill
	s_mov_b64 exec, s[6:7]
	v_writelane_b32 v43, s4, 43
	s_addk_i32 s32, 0x800
	buffer_store_dword v40, off, s[0:3], s33 offset:12 ; 4-byte Folded Spill
	buffer_store_dword v41, off, s[0:3], s33 offset:8 ; 4-byte Folded Spill
	;; [unrolled: 1-line block ×3, first 2 shown]
	buffer_store_dword v63, off, s[0:3], s33 ; 4-byte Folded Spill
	v_writelane_b32 v43, s34, 0
	v_writelane_b32 v43, s35, 1
	;; [unrolled: 1-line block ×43, first 2 shown]
	s_trap 2
	ds_read_b32 v0, v0
	v_mov_b32_e32 v40, v31
	v_and_b32_e32 v41, 0x3ff, v40
	s_mov_b32 s67, s12
	s_mov_b64 s[68:69], s[8:9]
	s_waitcnt lgkmcnt(0)
	v_cmp_lt_i32_e32 vcc, v41, v0
	s_and_saveexec_b64 s[4:5], vcc
	s_cbranch_execz .LBB3_5
; %bb.1:
	s_load_dword s6, s[68:69], 0x0
	v_mov_b32_e32 v1, 0
	s_mov_b32 s10, 0
	v_mov_b32_e32 v4, v41
                                        ; implicit-def: $vgpr2
	s_waitcnt lgkmcnt(0)
	s_cmp_lt_u32 s67, s6
	s_cselect_b32 s6, 12, 18
	s_add_u32 s6, s68, s6
	s_addc_u32 s7, s69, 0
	global_load_ushort v1, v1, s[6:7]
	s_trap 2
	ds_read_b32 v3, v0
	s_mov_b64 s[6:7], 0
	s_waitcnt vmcnt(0) lgkmcnt(0)
	v_mul_lo_u32 v3, v3, v1
	s_branch .LBB3_3
.LBB3_2:                                ;   in Loop: Header=BB3_3 Depth=1
	s_or_b64 exec, exec, s[8:9]
	v_add_u32_e32 v4, v4, v1
	v_cmp_ge_i32_e32 vcc, v4, v0
	s_or_b64 s[6:7], vcc, s[6:7]
	v_add_u32_e32 v2, v2, v3
	s_andn2_b64 exec, exec, s[6:7]
	s_cbranch_execz .LBB3_5
.LBB3_3:                                ; =>This Inner Loop Header: Depth=1
	ds_read_b32 v5, v2
	s_waitcnt lgkmcnt(0)
	v_and_b32_e32 v5, 0x1000000, v5
	v_cmp_ne_u32_e32 vcc, 0, v5
	s_and_saveexec_b64 s[8:9], vcc
	s_cbranch_execz .LBB3_2
; %bb.4:                                ;   in Loop: Header=BB3_3 Depth=1
	ds_read_b64 v[6:7], v2 offset:104
	s_waitcnt lgkmcnt(0)
	flat_load_ushort v5, v[6:7]
	v_mov_b32_e32 v7, s10
	s_waitcnt vmcnt(0) lgkmcnt(0)
	v_and_b32_e32 v6, 0xffff, v5
	ds_write_b64 v2, v[6:7] offset:104
	s_branch .LBB3_2
.LBB3_5:
	s_or_b64 exec, exec, s[4:5]
	s_waitcnt lgkmcnt(0)
	s_barrier
	s_trap 2
	ds_read_b32 v0, v0
	s_waitcnt lgkmcnt(0)
	v_cmp_gt_i32_e32 vcc, 1, v0
	s_cbranch_vccnz .LBB3_13
; %bb.6:
	s_mov_b32 s74, 0
	s_mov_b64 s[70:71], src_shared_base
	v_mov_b32_e32 v42, 6
	s_branch .LBB3_8
.LBB3_7:                                ;   in Loop: Header=BB3_8 Depth=1
	s_or_b64 exec, exec, s[72:73]
	s_trap 2
	ds_read_b32 v0, v0
	s_add_i32 s74, s74, 1
	s_waitcnt lgkmcnt(0)
	v_cmp_lt_i32_e32 vcc, s74, v0
	s_cbranch_vccz .LBB3_13
.LBB3_8:                                ; =>This Inner Loop Header: Depth=1
	s_trap 2
	ds_read_b32 v0, v0
	s_cmp_eq_u32 s74, 0
	s_cbranch_scc1 .LBB3_11
; %bb.9:                                ;   in Loop: Header=BB3_8 Depth=1
	s_trap 2
	s_waitcnt lgkmcnt(0)
	ds_read_b32 v1, v0
	s_waitcnt lgkmcnt(0)
	v_xor_b32_e32 v1, v1, v0
	v_and_b32_e32 v1, 0xff0000, v1
	v_cmp_eq_u32_e32 vcc, 0, v1
	s_cbranch_vccnz .LBB3_11
; %bb.10:                               ;   in Loop: Header=BB3_8 Depth=1
	s_barrier
	ds_read_b32 v0, v0
.LBB3_11:                               ;   in Loop: Header=BB3_8 Depth=1
	s_waitcnt lgkmcnt(0)
	v_lshlrev_b32_sdwa v1, v42, v0 dst_sel:DWORD dst_unused:UNUSED_PAD src0_sel:DWORD src1_sel:BYTE_2
	v_cmp_lt_u32_e32 vcc, v41, v1
	s_and_saveexec_b64 s[72:73], vcc
	s_cbranch_execz .LBB3_7
; %bb.12:                               ;   in Loop: Header=BB3_8 Depth=1
	s_mov_b64 s[8:9], s[68:69]
	s_mov_b32 s12, s67
	v_mov_b32_e32 v31, v40
	v_mov_b32_e32 v0, v41
	;; [unrolled: 1-line block ×3, first 2 shown]
	s_getpc_b64 s[4:5]
	s_add_u32 s4, s4, _ZN12_GLOBAL__N_17runRingI6__half13FuncPreMulSumIS1_E11ProtoSimpleILi1ELi1ELi0ELi1ELi0ELi0EELi0ELi1ELi0EEEviiP15ncclDevWorkColl@rel32@lo+4
	s_addc_u32 s5, s5, _ZN12_GLOBAL__N_17runRingI6__half13FuncPreMulSumIS1_E11ProtoSimpleILi1ELi1ELi0ELi1ELi0ELi0EELi0ELi1ELi0EEEviiP15ncclDevWorkColl@rel32@hi+12
	s_swappc_b64 s[30:31], s[4:5]
	s_branch .LBB3_7
.LBB3_13:
	buffer_load_dword v63, off, s[0:3], s33 ; 4-byte Folded Reload
	buffer_load_dword v42, off, s[0:3], s33 offset:4 ; 4-byte Folded Reload
	buffer_load_dword v41, off, s[0:3], s33 offset:8 ; 4-byte Folded Reload
	;; [unrolled: 1-line block ×3, first 2 shown]
	v_readlane_b32 s30, v43, 41
	v_readlane_b32 s31, v43, 42
	;; [unrolled: 1-line block ×44, first 2 shown]
	s_or_saveexec_b64 s[6:7], -1
	buffer_load_dword v43, off, s[0:3], s33 offset:16 ; 4-byte Folded Reload
	s_mov_b64 exec, s[6:7]
	s_addk_i32 s32, 0xf800
	s_mov_b32 s33, s4
	s_waitcnt vmcnt(0)
	s_setpc_b64 s[30:31]
.Lfunc_end3:
	.size	_Z50ncclDevFunc_Reduce_RING_SIMPLE_PreMulSum_f16_0_0_1v, .Lfunc_end3-_Z50ncclDevFunc_Reduce_RING_SIMPLE_PreMulSum_f16_0_0_1v
                                        ; -- End function
	.section	.AMDGPU.csdata,"",@progbits
; Function info:
; codeLenInByte = 1296
; NumSgprs: 79
; NumVgprs: 64
; NumAgprs: 32
; TotalNumVgprs: 96
; ScratchSize: 144
; MemoryBound: 0
	.text
	.p2align	2                               ; -- Begin function _ZN12_GLOBAL__N_17runRingI6__half13FuncPreMulSumIS1_E11ProtoSimpleILi1ELi1ELi0ELi2ELi0ELi0EELi0ELi2ELi0EEEviiP15ncclDevWorkColl
	.type	_ZN12_GLOBAL__N_17runRingI6__half13FuncPreMulSumIS1_E11ProtoSimpleILi1ELi1ELi0ELi2ELi0ELi0EELi0ELi2ELi0EEEviiP15ncclDevWorkColl,@function
_ZN12_GLOBAL__N_17runRingI6__half13FuncPreMulSumIS1_E11ProtoSimpleILi1ELi1ELi0ELi2ELi0ELi0EELi0ELi2ELi0EEEviiP15ncclDevWorkColl: ; @_ZN12_GLOBAL__N_17runRingI6__half13FuncPreMulSumIS1_E11ProtoSimpleILi1ELi1ELi0ELi2ELi0ELi0EELi0ELi2ELi0EEEviiP15ncclDevWorkColl
; %bb.0:
	s_waitcnt vmcnt(0) expcnt(0) lgkmcnt(0)
	s_mov_b32 s4, s33
	s_mov_b32 s33, s32
	s_or_saveexec_b64 s[6:7], -1
	buffer_store_dword v63, off, s[0:3], s33 offset:40 ; 4-byte Folded Spill
	s_mov_b64 exec, s[6:7]
	v_writelane_b32 v63, s4, 35
	v_accvgpr_write_b32 a27, v40            ;  Reload Reuse
	s_addk_i32 s32, 0xc00
	v_accvgpr_write_b32 a28, v41            ;  Reload Reuse
	v_accvgpr_write_b32 a29, v42            ;  Reload Reuse
	v_accvgpr_write_b32 a30, v43            ;  Reload Reuse
	v_accvgpr_write_b32 a31, v44            ;  Reload Reuse
	buffer_store_dword v45, off, s[0:3], s33 offset:36 ; 4-byte Folded Spill
	buffer_store_dword v46, off, s[0:3], s33 offset:32 ; 4-byte Folded Spill
	;; [unrolled: 1-line block ×9, first 2 shown]
	buffer_store_dword v62, off, s[0:3], s33 ; 4-byte Folded Spill
	v_writelane_b32 v63, s34, 0
	v_writelane_b32 v63, s35, 1
	;; [unrolled: 1-line block ×35, first 2 shown]
	s_trap 2
	ds_read_b64 v[14:15], v0
	ds_read_b32 v6, v0
	flat_load_ushort v17, v[2:3] offset:8
	flat_load_dwordx2 v[8:9], v[2:3]
	v_mov_b32_e32 v61, v0
                                        ; implicit-def: $vgpr18_vgpr19
                                        ; implicit-def: $vgpr50_vgpr51
	s_waitcnt lgkmcnt(0)
	v_ashrrev_i32_e32 v5, 31, v15
	v_mov_b32_e32 v4, v15
	v_lshlrev_b64 v[4:5], 2, v[4:5]
	v_add_co_u32_e32 v4, vcc, v14, v4
	v_addc_co_u32_e32 v5, vcc, v15, v5, vcc
	v_add_co_u32_e32 v4, vcc, -4, v4
	v_addc_co_u32_e32 v5, vcc, -1, v5, vcc
	flat_load_dword v24, v[4:5]
                                        ; implicit-def: $vgpr4_vgpr5
	s_waitcnt vmcnt(0)
	v_mov_b32_e32 v16, v9
	v_cmp_ne_u32_sdwa s[4:5], v8, v6 src0_sel:BYTE_0 src1_sel:DWORD
	s_and_saveexec_b64 s[6:7], s[4:5]
	s_xor_b64 s[4:5], exec, s[6:7]
	s_cbranch_execz .LBB4_6
; %bb.1:
	v_not_b32_sdwa v9, v8 dst_sel:DWORD dst_unused:UNUSED_PAD src0_sel:BYTE_0
	v_cmp_ne_u32_sdwa s[6:7], v8, v6 src0_sel:BYTE_1 src1_sel:DWORD
                                        ; implicit-def: $vgpr18_vgpr19
                                        ; implicit-def: $vgpr4_vgpr5
                                        ; implicit-def: $vgpr50_vgpr51
	s_and_saveexec_b64 s[10:11], s[6:7]
	s_xor_b64 s[6:7], exec, s[10:11]
	s_cbranch_execz .LBB4_3
; %bb.2:
	flat_load_dwordx4 v[10:13], v[2:3] offset:72
	flat_load_dwordx2 v[4:5], v[2:3] offset:96
	v_add_u32_e32 v6, v6, v9
	v_ashrrev_i32_e32 v7, 31, v6
                                        ; implicit-def: $vgpr8
                                        ; implicit-def: $vgpr9
	s_waitcnt vmcnt(0) lgkmcnt(0)
	v_mul_lo_u32 v7, v12, v7
	v_mad_u64_u32 v[50:51], s[10:11], v12, v6, v[10:11]
	v_mul_lo_u32 v6, v13, v6
	v_lshrrev_b64 v[18:19], 13, v[4:5]
	v_add3_u32 v51, v6, v51, v7
	v_pk_mov_b32 v[4:5], v[12:13], v[12:13] op_sel:[0,1]
.LBB4_3:
	s_andn2_saveexec_b64 s[6:7], s[6:7]
	s_cbranch_execz .LBB4_5
; %bb.4:
	flat_load_dwordx4 v[10:13], v[2:3] offset:72
	flat_load_dwordx4 v[4:7], v[2:3] offset:88
	s_waitcnt vmcnt(0) lgkmcnt(0)
	v_add_u32_sdwa v6, v8, v9 dst_sel:DWORD dst_unused:UNUSED_PAD src0_sel:BYTE_1 src1_sel:DWORD
	v_ashrrev_i32_e32 v8, 31, v6
	v_mul_lo_u32 v8, v12, v8
	v_mad_u64_u32 v[50:51], s[10:11], v12, v6, v[10:11]
	v_mul_lo_u32 v6, v13, v6
	v_add3_u32 v51, v6, v51, v8
	v_lshrrev_b32_e32 v18, 2, v7
.LBB4_5:
	s_or_b64 exec, exec, s[6:7]
.LBB4_6:
	s_andn2_saveexec_b64 s[4:5], s[4:5]
	s_cbranch_execz .LBB4_8
; %bb.7:
	flat_load_dwordx2 v[6:7], v[2:3] offset:96
	flat_load_dwordx2 v[4:5], v[2:3] offset:72
	v_pk_mov_b32 v[50:51], 0, 0
	s_waitcnt vmcnt(0) lgkmcnt(0)
	v_lshlrev_b64 v[18:19], 8, v[6:7]
.LBB4_8:
	s_or_b64 exec, exec, s[4:5]
	s_trap 2
	ds_read_b64 v[6:7], v0
	s_waitcnt lgkmcnt(0)
	v_cmp_ne_u32_e32 vcc, -1, v6
	v_cndmask_b32_e64 v15, 0, 1, vcc
	v_cmp_ne_u32_e32 vcc, -1, v7
	v_addc_co_u32_e64 v6, s[4:5], 0, v15, vcc
	v_lshlrev_b32_e32 v7, 1, v6
	v_cmp_le_i32_e64 s[4:5], v7, v1
	s_and_saveexec_b64 s[6:7], s[4:5]
	s_xor_b64 s[24:25], exec, s[6:7]
	s_cbranch_execz .LBB4_604
; %bb.9:
	flat_load_dwordx4 v[10:13], v[2:3] offset:16
	flat_load_dwordx2 v[20:21], v[2:3] offset:104
	s_trap 2
	s_load_dword s4, s[8:9], 0x0
	v_mov_b32_e32 v2, 0
	s_waitcnt lgkmcnt(0)
	s_cmp_lt_u32 s12, s4
	s_cselect_b32 s4, 12, 18
	s_add_u32 s4, s8, s4
	s_addc_u32 s5, s9, 0
	global_load_ushort v25, v2, s[4:5]
	ds_read_b32 v2, v0
	v_cmp_ge_i32_e64 s[4:5], v61, v15
	s_waitcnt lgkmcnt(0)
	v_readfirstlane_b32 s12, v2
	v_mov_b32_e32 v2, 4
	s_and_saveexec_b64 s[6:7], s[4:5]
	s_cbranch_execz .LBB4_19
; %bb.10:
	v_cmp_le_u32_e64 s[4:5], v6, v61
                                        ; implicit-def: $vgpr2
	s_and_saveexec_b64 s[10:11], s[4:5]
	s_xor_b64 s[4:5], exec, s[10:11]
	s_cbranch_execz .LBB4_16
; %bb.11:
	v_cndmask_b32_e64 v2, 0, 1, vcc
	v_sub_u32_e32 v2, v1, v2
	v_cmp_ge_u32_e32 vcc, v61, v2
                                        ; implicit-def: $sgpr13
	s_and_saveexec_b64 s[10:11], vcc
	s_xor_b64 s[10:11], exec, s[10:11]
; %bb.12:
	s_mov_b32 s13, 16
                                        ; implicit-def: $vgpr6
; %bb.13:
	s_or_saveexec_b64 s[10:11], s[10:11]
	v_mov_b32_e32 v2, s13
	s_xor_b64 exec, exec, s[10:11]
; %bb.14:
	v_sub_u32_e32 v2, v1, v6
	v_cmp_ge_i32_e32 vcc, v61, v2
	v_cndmask_b32_e64 v2, 0, 1, vcc
	v_lshlrev_b32_e32 v2, 5, v2
; %bb.15:
	s_or_b64 exec, exec, s[10:11]
.LBB4_16:
	s_andn2_saveexec_b64 s[4:5], s[4:5]
; %bb.17:
	v_mov_b32_e32 v2, 8
; %bb.18:
	s_or_b64 exec, exec, s[4:5]
.LBB4_19:
	s_or_b64 exec, exec, s[6:7]
	v_and_b32_e32 v3, 36, v2
	v_cmp_ne_u32_e32 vcc, 0, v3
	v_mov_b32_e32 v22, -1
	s_and_saveexec_b64 s[4:5], vcc
	s_cbranch_execz .LBB4_21
; %bb.20:
	s_trap 2
	ds_read_b32 v22, v0
.LBB4_21:
	s_or_b64 exec, exec, s[4:5]
	v_and_b32_e32 v3, 24, v2
	v_cmp_ne_u32_e64 s[4:5], 0, v3
	s_and_saveexec_b64 s[6:7], s[4:5]
	s_cbranch_execz .LBB4_23
; %bb.22:
	s_trap 2
	s_waitcnt lgkmcnt(0)
	ds_read_b32 v22, v0
.LBB4_23:
	s_or_b64 exec, exec, s[6:7]
	v_lshrrev_b64 v[6:7], 31, v[16:17]
	v_pk_mov_b32 v[26:27], 0, 0
	v_and_b32_e32 v3, 3, v6
	s_waitcnt lgkmcnt(0)
	v_ashrrev_i32_e32 v23, 31, v22
	v_pk_mov_b32 v[6:7], v[26:27], v[26:27] op_sel:[0,1]
                                        ; implicit-def: $agpr4_agpr5
                                        ; implicit-def: $vgpr56
                                        ; implicit-def: $vgpr34_vgpr35
                                        ; implicit-def: $vgpr58_vgpr59
                                        ; implicit-def: $vgpr28_vgpr29
	s_and_saveexec_b64 s[4:5], vcc
	s_cbranch_execz .LBB4_33
; %bb.24:
	s_trap 2
	ds_read_b64 v[6:7], v0
	v_lshlrev_b64 v[8:9], 3, v[22:23]
	s_movk_i32 s6, 0xa8
                                        ; implicit-def: $agpr4_agpr5
	s_waitcnt lgkmcnt(0)
	v_add_co_u32_e32 v6, vcc, v6, v8
	v_addc_co_u32_e32 v7, vcc, v7, v9, vcc
	flat_load_dwordx2 v[6:7], v[6:7]
	v_and_b32_e32 v8, 0xffff, v3
	s_waitcnt vmcnt(0) lgkmcnt(0)
	v_mad_u64_u32 v[6:7], s[6:7], v8, s6, v[6:7]
	flat_load_dword v8, v[6:7] offset:640
	v_add_co_u32_e32 v26, vcc, 0x1f8, v6
	v_addc_co_u32_e32 v27, vcc, 0, v7, vcc
	s_waitcnt vmcnt(0) lgkmcnt(0)
	v_cmp_eq_u32_e32 vcc, 1, v8
	s_and_saveexec_b64 s[6:7], vcc
	s_cbranch_execz .LBB4_26
; %bb.25:
	flat_load_dwordx2 v[8:9], v[26:27] offset:144
	v_or_b32_e32 v2, 0x2000, v2
	s_waitcnt vmcnt(0) lgkmcnt(0)
	flat_load_dwordx2 v[6:7], v[8:9]
	s_trap 2
	v_accvgpr_write_b32 a4, v8
	v_accvgpr_write_b32 a5, v9
	s_waitcnt vmcnt(0) lgkmcnt(0)
	ds_write_b64 v0, v[6:7]
	flat_load_dwordx2 v[6:7], v[8:9] offset:8
	s_waitcnt vmcnt(0) lgkmcnt(0)
	ds_write_b64 v0, v[6:7]
	flat_load_dwordx2 v[6:7], v[8:9] offset:16
	s_waitcnt vmcnt(0) lgkmcnt(0)
	ds_write_b64 v0, v[6:7]
.LBB4_26:
	s_or_b64 exec, exec, s[6:7]
	flat_load_dwordx2 v[8:9], v[26:27] offset:104
	v_and_b32_e32 v6, 32, v2
	v_cmp_ne_u32_e32 vcc, 0, v6
                                        ; implicit-def: $vgpr28_vgpr29
	s_and_saveexec_b64 s[6:7], vcc
	s_cbranch_execz .LBB4_28
; %bb.27:
	flat_load_dwordx2 v[28:29], v[26:27] offset:56
	s_waitcnt vmcnt(0) lgkmcnt(0)
	flat_store_dwordx2 v[28:29], v[8:9]
.LBB4_28:
	s_or_b64 exec, exec, s[6:7]
	v_and_b32_e32 v6, 4, v2
	v_cmp_ne_u32_e32 vcc, 0, v6
	v_pk_mov_b32 v[6:7], 0, 0
                                        ; implicit-def: $vgpr56
                                        ; implicit-def: $vgpr34_vgpr35
                                        ; implicit-def: $vgpr58_vgpr59
	s_and_saveexec_b64 s[6:7], vcc
	s_cbranch_execz .LBB4_32
; %bb.29:
	v_and_b32_e32 v6, 0x800, v2
	v_cmp_eq_u32_e32 vcc, 0, v6
	s_and_saveexec_b64 s[10:11], vcc
	s_cbranch_execz .LBB4_31
; %bb.30:
	s_trap 2
	ds_write_b64 v0, v[26:27]
.LBB4_31:
	s_or_b64 exec, exec, s[10:11]
	flat_load_dwordx2 v[28:29], v[26:27] offset:48
	v_or_b32_e32 v19, 0x100, v2
	s_waitcnt vmcnt(0) lgkmcnt(0)
	flat_load_dwordx2 v[34:35], v[28:29] glc
	flat_load_dword v17, v[26:27] offset:72
	flat_load_dwordx2 v[6:7], v[26:27] offset:96
	flat_load_dwordx2 v[58:59], v[26:27] offset:16
	s_waitcnt vmcnt(0) lgkmcnt(0)
	v_ashrrev_i32_e32 v56, 1, v17
	v_cmp_eq_u64_e32 vcc, 0, v[6:7]
	v_cndmask_b32_e32 v2, v19, v2, vcc
.LBB4_32:
	s_or_b64 exec, exec, s[6:7]
.LBB4_33:
	s_or_b64 exec, exec, s[4:5]
	v_and_b32_e32 v17, 24, v2
	v_cmp_ne_u32_e32 vcc, 0, v17
                                        ; implicit-def: $vgpr46_vgpr47
	s_and_saveexec_b64 s[4:5], vcc
	s_cbranch_execz .LBB4_41
; %bb.34:
	s_trap 2
	ds_read_b64 v[6:7], v0
	s_waitcnt vmcnt(0) lgkmcnt(0)
	v_lshlrev_b64 v[8:9], 3, v[22:23]
	v_and_b32_e32 v3, 0xffff, v3
	s_movk_i32 s6, 0xa8
                                        ; implicit-def: $vgpr46_vgpr47
	v_add_co_u32_e32 v6, vcc, v6, v8
	v_addc_co_u32_e32 v7, vcc, v7, v9, vcc
	flat_load_dwordx2 v[6:7], v[6:7]
	s_waitcnt vmcnt(0) lgkmcnt(0)
	v_mad_u64_u32 v[26:27], s[6:7], v3, s6, v[6:7]
	flat_load_dwordx4 v[6:9], v[26:27] offset:96
	v_or_b32_e32 v3, 0x100, v2
	s_waitcnt vmcnt(0) lgkmcnt(0)
	v_cmp_eq_u64_e32 vcc, 0, v[6:7]
	v_cndmask_b32_e32 v2, v3, v2, vcc
	v_and_b32_e32 v3, 16, v2
	v_cmp_ne_u32_e32 vcc, 0, v3
	s_and_saveexec_b64 s[6:7], vcc
	s_cbranch_execz .LBB4_36
; %bb.35:
	flat_load_dwordx2 v[46:47], v[26:27] offset:120
	flat_load_dwordx2 v[28:29], v[26:27] offset:48
	;; [unrolled: 1-line block ×3, first 2 shown]
.LBB4_36:
	s_or_b64 exec, exec, s[6:7]
	v_and_b32_e32 v3, 8, v2
	v_cmp_ne_u32_e32 vcc, 0, v3
	s_and_saveexec_b64 s[6:7], vcc
	s_cbranch_execz .LBB4_40
; %bb.37:
	v_and_b32_e32 v3, 0x800, v2
	v_cmp_eq_u32_e32 vcc, 0, v3
	s_and_saveexec_b64 s[10:11], vcc
	s_cbranch_execz .LBB4_39
; %bb.38:
	s_trap 2
	ds_write_b64 v0, v[26:27]
.LBB4_39:
	s_or_b64 exec, exec, s[10:11]
	s_waitcnt vmcnt(0) lgkmcnt(0)
	flat_load_dwordx2 v[28:29], v[26:27] offset:56
	s_waitcnt vmcnt(0) lgkmcnt(0)
	flat_load_dwordx2 v[34:35], v[28:29] glc
	flat_load_dword v3, v[26:27] offset:72
	flat_load_dwordx2 v[58:59], v[26:27] offset:16
	s_waitcnt vmcnt(0) lgkmcnt(0)
	v_ashrrev_i32_e32 v56, 1, v3
.LBB4_40:
	s_or_b64 exec, exec, s[6:7]
.LBB4_41:
	s_or_b64 exec, exec, s[4:5]
	v_cmp_eq_u32_e64 s[4:5], 0, v61
	s_and_saveexec_b64 s[6:7], s[4:5]
	s_cbranch_execz .LBB4_43
; %bb.42:
	s_waitcnt vmcnt(0)
	ds_write2_b64 v0, v[12:13], v[10:11] offset1:1
	v_mov_b32_e32 v10, 0
	v_mov_b32_e32 v11, v10
	s_trap 2
	ds_write_b64 v0, v[10:11]
	ds_write_b64 v0, v[20:21]
.LBB4_43:
	s_or_b64 exec, exec, s[6:7]
	s_ashr_i32 s6, s12, 31
	s_lshr_b32 s6, s6, 29
	s_add_i32 s12, s12, s6
	v_bfe_u32 v3, v16, 1, 30
	v_and_b32_e32 v38, 0x1fffff00, v18
	v_mov_b32_e32 v39, 0
	s_ashr_i32 s62, s12, 4
	v_cmp_ne_u32_e32 vcc, v24, v3
                                        ; implicit-def: $vgpr36_vgpr37
	s_and_saveexec_b64 s[6:7], vcc
	s_xor_b64 s[26:27], exec, s[6:7]
	s_cbranch_execz .LBB4_395
; %bb.44:
	v_cmp_ne_u32_e32 vcc, v14, v3
	v_cmp_ne_u64_e64 s[6:7], 0, v[4:5]
                                        ; implicit-def: $vgpr36_vgpr37
	s_and_saveexec_b64 s[10:11], vcc
	s_xor_b64 s[28:29], exec, s[10:11]
	s_cbranch_execz .LBB4_225
; %bb.45:
	v_pk_mov_b32 v[36:37], 0, 0
	s_and_saveexec_b64 s[30:31], s[6:7]
	s_cbranch_execz .LBB4_224
; %bb.46:
	v_and_b32_e32 v3, 63, v31
	v_cmp_eq_u32_e64 s[14:15], 0, v3
	v_ashrrev_i32_e32 v3, 31, v61
	v_lshrrev_b32_e32 v3, 26, v3
	v_add_u32_e32 v3, v61, v3
	s_waitcnt vmcnt(0)
	v_and_b32_e32 v10, 0xffffffc0, v3
	v_ashrrev_i32_e32 v60, 6, v3
	v_sub_u32_e32 v0, v61, v10
	v_lshlrev_b32_e32 v3, 11, v60
	v_lshrrev_b32_e32 v52, 6, v1
	v_cmp_le_i32_e64 s[16:17], v0, v15
	v_cmp_lt_i32_e64 s[18:19], v0, v15
	v_accvgpr_write_b32 a15, v0
	v_lshl_add_u32 v0, v0, 4, v3
	v_mov_b32_e32 v3, 0xfffff800
	v_lshl_add_u32 v3, v52, 11, v3
	s_movk_i32 s20, 0x800
	v_ashrrev_i32_e32 v10, 31, v3
	v_add_co_u32_e64 v41, s[20:21], s20, v3
	s_lshr_b32 s10, s62, 27
	v_addc_co_u32_e64 v40, s[20:21], 0, v10, s[20:21]
	v_lshlrev_b32_e32 v49, 10, v52
	s_add_i32 s10, s62, s10
	v_add_u32_e32 v3, 0xfffffc00, v49
	s_movk_i32 s20, 0x400
	s_ashr_i32 s63, s10, 5
	v_cmp_ge_i32_e64 s[10:11], v61, v1
	v_cmp_eq_u32_e32 vcc, 64, v1
	v_cmp_ne_u32_e64 s[12:13], 64, v1
	v_cmp_ne_u32_sdwa s[34:35], v25, v1 src0_sel:WORD_0 src1_sel:DWORD
	v_accvgpr_write_b32 a0, v1
	v_accvgpr_write_b32 a18, v0
	v_ashrrev_i32_e32 v1, 31, v0
	v_ashrrev_i32_e32 v10, 31, v3
	v_add_co_u32_e64 v0, s[20:21], s20, v3
	v_accvgpr_write_b32 a17, v1
	v_addc_co_u32_e64 v1, s[20:21], 0, v10, s[20:21]
	v_mov_b32_e32 v10, 0xfffffe00
	v_lshl_add_u32 v10, v52, 9, v10
	s_movk_i32 s20, 0x200
	v_ashrrev_i32_e32 v11, 31, v10
	v_add_co_u32_e64 v62, s[20:21], s20, v10
	v_accvgpr_write_b32 a1, v31
	v_addc_co_u32_e64 v31, s[20:21], 0, v11, s[20:21]
	v_lshlrev_b32_e32 v53, 7, v52
	v_add_u32_e32 v10, 0xffffff80, v53
	s_movk_i32 s20, 0x80
	v_ashrrev_i32_e32 v11, 31, v10
	v_add_co_u32_e64 v30, s[20:21], s20, v10
	v_addc_co_u32_e64 v48, s[20:21], 0, v11, s[20:21]
	v_lshlrev_b64 v[10:11], 1, v[50:51]
	v_accvgpr_write_b32 a6, v26
	v_pk_mov_b32 v[42:43], 0, 0
	v_accvgpr_write_b32 a25, v11
	v_accvgpr_write_b32 a7, v27
	v_ashrrev_i32_e32 v33, 31, v56
	v_accvgpr_write_b32 a2, v25
	v_mov_b32_e32 v24, 0
	v_accvgpr_write_b32 a21, v1
	s_mov_b64 s[36:37], 0
	s_waitcnt lgkmcnt(0)
	v_cmp_eq_u64_e64 s[20:21], 0, v[46:47]
	s_movk_i32 s64, 0x270e
	s_movk_i32 s65, 0x108
	v_mov_b32_e32 v54, 1
	s_xor_b64 s[38:39], vcc, -1
	v_accvgpr_write_b32 a24, v10
	v_mov_b32_e32 v51, v0
	v_pk_mov_b32 v[36:37], v[42:43], v[42:43] op_sel:[0,1]
	v_accvgpr_write_b32 a19, v49
	v_accvgpr_write_b32 a20, v0
	;; [unrolled: 1-line block ×3, first 2 shown]
	s_trap 2
	s_branch .LBB4_49
.LBB4_47:                               ;   in Loop: Header=BB4_49 Depth=1
	s_or_b64 exec, exec, s[22:23]
.LBB4_48:                               ;   in Loop: Header=BB4_49 Depth=1
	s_or_b64 exec, exec, s[42:43]
	v_add_co_u32_e32 v42, vcc, v42, v38
	v_addc_co_u32_e32 v43, vcc, 0, v43, vcc
	v_cmp_ge_u64_e32 vcc, v[42:43], v[4:5]
	s_or_b64 s[36:37], vcc, s[36:37]
	s_andn2_b64 exec, exec, s[36:37]
	s_cbranch_execz .LBB4_223
.LBB4_49:                               ; =>This Loop Header: Depth=1
                                        ;     Child Loop BB4_58 Depth 2
                                        ;     Child Loop BB4_86 Depth 2
	;; [unrolled: 1-line block ×10, first 2 shown]
	v_sub_co_u32_e32 v10, vcc, v4, v42
	v_subb_co_u32_e32 v11, vcc, v5, v43, vcc
	v_cmp_lt_u64_e32 vcc, v[38:39], v[10:11]
	v_cndmask_b32_e64 v45, v11, 0, vcc
	v_cndmask_b32_e32 v44, v10, v38, vcc
	v_add_u32_e32 v0, 15, v44
	v_cmp_eq_u64_e32 vcc, 0, v[44:45]
	v_and_b32_e32 v0, 0x3ffffff0, v0
	s_or_b64 s[40:41], s[10:11], vcc
	v_max_i32_e32 v50, s63, v0
	s_xor_b64 s[22:23], s[40:41], -1
	v_mov_b32_e32 v11, 0
	s_and_saveexec_b64 s[42:43], s[22:23]
	s_cbranch_execz .LBB4_171
; %bb.50:                               ;   in Loop: Header=BB4_49 Depth=1
	s_and_saveexec_b64 s[22:23], s[4:5]
	s_cbranch_execz .LBB4_52
; %bb.51:                               ;   in Loop: Header=BB4_49 Depth=1
	s_trap 2
	ds_read_b64 v[10:11], v0
	v_accvgpr_read_b32 v0, a24
	v_accvgpr_read_b32 v1, a25
	v_mov_b32_e32 v25, v24
	s_waitcnt lgkmcnt(0)
	v_add_co_u32_e32 v0, vcc, v10, v0
	v_addc_co_u32_e32 v1, vcc, v11, v1, vcc
	v_lshlrev_b64 v[10:11], 1, v[42:43]
	v_add_co_u32_e32 v10, vcc, v0, v10
	v_addc_co_u32_e32 v11, vcc, v1, v11, vcc
	ds_write_b64 v0, v[10:11]
	ds_write_b64 v0, v[24:25]
.LBB4_52:                               ;   in Loop: Header=BB4_49 Depth=1
	s_or_b64 exec, exec, s[22:23]
	v_and_b32_e32 v0, 12, v2
	v_cmp_ne_u32_e32 vcc, 0, v0
	s_mov_b64 s[44:45], -1
	s_and_saveexec_b64 s[22:23], vcc
	s_cbranch_execz .LBB4_64
; %bb.53:                               ;   in Loop: Header=BB4_49 Depth=1
	v_and_b32_e32 v10, 8, v2
	v_add_co_u32_e32 v14, vcc, v34, v10
	v_addc_co_u32_e32 v15, vcc, 0, v35, vcc
	v_add_co_u32_e32 v12, vcc, 1, v8
	v_addc_co_u32_e32 v13, vcc, 0, v9, vcc
	v_cmp_lt_u64_e32 vcc, v[14:15], v[12:13]
	v_mov_b32_e32 v11, 1
	s_and_saveexec_b64 s[44:45], vcc
	s_cbranch_execz .LBB4_63
; %bb.54:                               ;   in Loop: Header=BB4_49 Depth=1
	s_mov_b64 s[46:47], 0
	v_mov_b32_e32 v11, 0
                                        ; implicit-def: $sgpr48_sgpr49
	s_branch .LBB4_58
.LBB4_55:                               ;   in Loop: Header=BB4_58 Depth=2
	s_or_b64 exec, exec, s[56:57]
	v_mov_b32_e32 v14, 0
	s_orn2_b64 s[54:55], s[54:55], exec
.LBB4_56:                               ;   in Loop: Header=BB4_58 Depth=2
	s_or_b64 exec, exec, s[52:53]
	s_andn2_b64 vcc, s[48:49], exec
	s_and_b64 s[48:49], s[54:55], exec
	s_or_b64 s[48:49], vcc, s[48:49]
	v_mov_b32_e32 v11, v14
.LBB4_57:                               ;   in Loop: Header=BB4_58 Depth=2
	s_or_b64 exec, exec, s[50:51]
	s_waitcnt vmcnt(0) lgkmcnt(0)
	v_add_co_u32_e32 v14, vcc, v34, v10
	v_addc_co_u32_e32 v15, vcc, 0, v35, vcc
	v_cmp_ge_u64_e32 vcc, v[14:15], v[12:13]
	s_xor_b64 s[50:51], s[48:49], -1
	s_or_b64 vcc, s[50:51], vcc
	s_and_b64 vcc, exec, vcc
	s_or_b64 s[46:47], vcc, s[46:47]
	s_andn2_b64 exec, exec, s[46:47]
	s_cbranch_execz .LBB4_62
.LBB4_58:                               ;   Parent Loop BB4_49 Depth=1
                                        ; =>  This Inner Loop Header: Depth=2
	s_sleep 1
	flat_load_dwordx2 v[34:35], v[28:29] glc
	v_and_b32_e32 v0, 64, v2
	v_cmp_eq_u32_e32 vcc, 0, v0
	s_andn2_b64 s[48:49], s[48:49], exec
	s_and_saveexec_b64 s[50:51], vcc
	s_cbranch_execz .LBB4_57
; %bb.59:                               ;   in Loop: Header=BB4_58 Depth=2
	v_add_u32_e32 v14, 1, v11
	v_cmp_lt_i32_e32 vcc, s64, v11
	s_mov_b64 s[54:55], -1
	s_and_saveexec_b64 s[52:53], vcc
	s_cbranch_execz .LBB4_56
; %bb.60:                               ;   in Loop: Header=BB4_58 Depth=2
	s_trap 2
	ds_read_b64 v[14:15], v0
	s_waitcnt vmcnt(0) lgkmcnt(0)
	flat_load_dword v11, v[14:15] glc
	s_waitcnt vmcnt(0) lgkmcnt(0)
	buffer_invl2
	buffer_wbinvl1_vol
	v_cmp_ne_u32_e32 vcc, 0, v11
	s_and_saveexec_b64 s[56:57], vcc
	s_cbranch_execz .LBB4_55
; %bb.61:                               ;   in Loop: Header=BB4_58 Depth=2
	v_or_b32_e32 v2, 64, v2
	s_xor_b64 s[54:55], exec, -1
	ds_write_b32 v0, v11
	s_trap 2
	s_branch .LBB4_55
.LBB4_62:                               ;   in Loop: Header=BB4_49 Depth=1
	s_or_b64 exec, exec, s[46:47]
	v_and_b32_e32 v11, 12, v2
.LBB4_63:                               ;   in Loop: Header=BB4_49 Depth=1
	s_or_b64 exec, exec, s[44:45]
	v_cmp_eq_u32_e32 vcc, 0, v11
	s_orn2_b64 s[44:45], vcc, exec
	;;#ASMSTART
	s_wakeup
	;;#ASMEND
.LBB4_64:                               ;   in Loop: Header=BB4_49 Depth=1
	s_or_b64 exec, exec, s[22:23]
	s_xor_b64 s[22:23], s[44:45], -1
	v_min_u32_e32 v50, v50, v44
	s_and_saveexec_b64 s[44:45], s[22:23]
	s_cbranch_execz .LBB4_78
; %bb.65:                               ;   in Loop: Header=BB4_49 Depth=1
	v_and_b32_e32 v0, 0x108, v2
	v_cmp_ne_u32_e32 vcc, s65, v0
	v_and_b32_e32 v10, 7, v8
	s_and_saveexec_b64 s[22:23], vcc
	s_xor_b64 s[22:23], exec, s[22:23]
                                        ; implicit-def: $vgpr12_vgpr13
; %bb.66:                               ;   in Loop: Header=BB4_49 Depth=1
	v_mov_b32_e32 v13, v24
; %bb.67:                               ;   in Loop: Header=BB4_49 Depth=1
	s_andn2_saveexec_b64 s[22:23], s[22:23]
	s_cbranch_execz .LBB4_69
; %bb.68:                               ;   in Loop: Header=BB4_49 Depth=1
	v_mov_b32_e32 v13, v24
	v_mad_u64_u32 v[14:15], vcc, v10, 24, v[6:7]
	v_lshlrev_b32_e32 v16, 1, v50
	v_mov_b32_e32 v17, v24
	flat_store_dwordx2 v[14:15], v[16:17] offset:8
.LBB4_69:                               ;   in Loop: Header=BB4_49 Depth=1
	s_or_b64 exec, exec, s[22:23]
	v_and_b32_e32 v0, 0x100, v2
	v_cmp_ne_u32_e32 vcc, 0, v0
	s_mov_b64 s[22:23], -1
                                        ; implicit-def: $vgpr14_vgpr15
	s_and_saveexec_b64 s[46:47], vcc
	s_cbranch_execz .LBB4_73
; %bb.70:                               ;   in Loop: Header=BB4_49 Depth=1
	v_mad_u64_u32 v[16:17], s[22:23], v10, 24, v[6:7]
	v_mov_b32_e32 v12, v17
	v_mad_u64_u32 v[14:15], s[22:23], v13, 24, v[12:13]
	v_mov_b32_e32 v17, v14
	flat_load_dword v0, v[16:17]
                                        ; implicit-def: $vgpr14_vgpr15
	s_waitcnt vmcnt(0) lgkmcnt(0)
	v_cmp_ne_u32_e32 vcc, 1, v0
	v_cmp_eq_u32_e64 s[22:23], 1, v0
	s_and_saveexec_b64 s[48:49], s[22:23]
	s_cbranch_execz .LBB4_72
; %bb.71:                               ;   in Loop: Header=BB4_49 Depth=1
	flat_load_dword v14, v[16:17] offset:4 glc
	s_waitcnt vmcnt(0) lgkmcnt(0)
	v_ashrrev_i32_e32 v15, 31, v14
	v_lshrrev_b64 v[14:15], 1, v[14:15]
.LBB4_72:                               ;   in Loop: Header=BB4_49 Depth=1
	s_or_b64 exec, exec, s[48:49]
	s_orn2_b64 s[22:23], vcc, exec
.LBB4_73:                               ;   in Loop: Header=BB4_49 Depth=1
	s_or_b64 exec, exec, s[46:47]
	s_and_saveexec_b64 vcc, s[22:23]
; %bb.74:                               ;   in Loop: Header=BB4_49 Depth=1
	v_mul_lo_u32 v0, v13, v56
	v_mul_lo_u32 v1, v10, v33
	v_mad_u64_u32 v[14:15], s[22:23], v10, v56, 0
	v_add3_u32 v15, v15, v1, v0
; %bb.75:                               ;   in Loop: Header=BB4_49 Depth=1
	s_or_b64 exec, exec, vcc
	v_lshlrev_b64 v[10:11], 1, v[14:15]
	v_add_co_u32_e32 v10, vcc, v58, v10
	v_addc_co_u32_e32 v11, vcc, v59, v11, vcc
	s_trap 2
	ds_write_b64 v0, v[10:11]
	v_and_b32_e32 v0, 0x2000, v2
	v_cmp_ne_u32_e32 vcc, 0, v0
	s_and_saveexec_b64 s[22:23], vcc
	s_cbranch_execz .LBB4_77
; %bb.76:                               ;   in Loop: Header=BB4_49 Depth=1
	ds_read_b64 v[10:11], v0 offset:584
	s_waitcnt lgkmcnt(0)
	v_add_co_u32_e32 v10, vcc, 1, v10
	v_addc_co_u32_e32 v11, vcc, 0, v11, vcc
	ds_write_b64 v0, v[10:11] offset:584
.LBB4_77:                               ;   in Loop: Header=BB4_49 Depth=1
	s_or_b64 exec, exec, s[22:23]
	v_add_co_u32_e32 v8, vcc, 1, v8
	v_addc_co_u32_e32 v9, vcc, 0, v9, vcc
.LBB4_78:                               ;   in Loop: Header=BB4_49 Depth=1
	s_or_b64 exec, exec, s[44:45]
	s_and_saveexec_b64 s[22:23], s[12:13]
	s_cbranch_execz .LBB4_97
; %bb.79:                               ;   in Loop: Header=BB4_49 Depth=1
	s_and_saveexec_b64 vcc, s[34:35]
	s_xor_b64 s[44:45], exec, vcc
	s_cbranch_execz .LBB4_94
; %bb.80:                               ;   in Loop: Header=BB4_49 Depth=1
	s_and_saveexec_b64 s[46:47], s[14:15]
	s_cbranch_execz .LBB4_93
; %bb.81:                               ;   in Loop: Header=BB4_49 Depth=1
	s_mov_b64 s[50:51], exec
	v_mbcnt_lo_u32_b32 v0, s50, 0
	v_mbcnt_hi_u32_b32 v0, s51, v0
	v_cmp_eq_u32_e32 vcc, 0, v0
	s_waitcnt vmcnt(0) lgkmcnt(0)
	buffer_wbinvl1_vol
	s_and_saveexec_b64 s[48:49], vcc
	s_cbranch_execz .LBB4_83
; %bb.82:                               ;   in Loop: Header=BB4_49 Depth=1
	s_bcnt1_i32_b64 vcc_lo, s[50:51]
	v_mov_b32_e32 v10, vcc_lo
	v_mov_b32_e32 v11, v24
	ds_add_u64 v0, v[10:11]
	s_trap 2
.LBB4_83:                               ;   in Loop: Header=BB4_49 Depth=1
	s_or_b64 exec, exec, s[48:49]
	s_trap 2
	ds_read_b64 v[10:11], v0
	v_add_co_u32_e32 v36, vcc, v36, v52
	v_addc_co_u32_e32 v37, vcc, 0, v37, vcc
	s_waitcnt lgkmcnt(0)
	v_cmp_lt_u64_e32 vcc, v[10:11], v[36:37]
	s_and_saveexec_b64 s[48:49], vcc
	s_cbranch_execz .LBB4_92
; %bb.84:                               ;   in Loop: Header=BB4_49 Depth=1
	s_mov_b32 s60, 0
	s_mov_b64 s[50:51], 0
                                        ; implicit-def: $sgpr52_sgpr53
                                        ; implicit-def: $sgpr54_sgpr55
	s_branch .LBB4_86
.LBB4_85:                               ;   in Loop: Header=BB4_86 Depth=2
	s_or_b64 exec, exec, s[58:59]
	s_and_b64 vcc, exec, vcc
	s_or_b64 s[50:51], vcc, s[50:51]
	s_andn2_b64 vcc, s[52:53], exec
	s_and_b64 s[52:53], s[54:55], exec
	s_or_b64 s[52:53], vcc, s[52:53]
	s_andn2_b64 exec, exec, s[50:51]
	s_cbranch_execz .LBB4_90
.LBB4_86:                               ;   Parent Loop BB4_49 Depth=1
                                        ; =>  This Inner Loop Header: Depth=2
	s_add_i32 s60, s60, 1
	s_cmpk_lg_i32 s60, 0x2710
	s_cselect_b64 s[56:57], -1, 0
	s_and_b64 vcc, exec, s[56:57]
                                        ; implicit-def: $sgpr58_sgpr59
	s_cbranch_vccnz .LBB4_88
; %bb.87:                               ;   in Loop: Header=BB4_86 Depth=2
	s_trap 2
	ds_read_b64 v[10:11], v0
	s_andn2_b64 s[56:57], s[56:57], exec
	s_mov_b32 s60, 0
	s_mov_b64 s[58:59], -1
	s_waitcnt lgkmcnt(0)
	flat_load_dword v0, v[10:11] glc
	s_waitcnt vmcnt(0) lgkmcnt(0)
	buffer_invl2
	buffer_wbinvl1_vol
	v_cmp_eq_u32_e32 vcc, 0, v0
	s_and_b64 vcc, vcc, exec
	s_or_b64 s[56:57], s[56:57], vcc
.LBB4_88:                               ;   in Loop: Header=BB4_86 Depth=2
	s_andn2_b64 s[54:55], s[54:55], exec
	s_and_b64 s[58:59], s[58:59], exec
	s_mov_b64 vcc, -1
	s_or_b64 s[54:55], s[54:55], s[58:59]
	s_and_saveexec_b64 s[58:59], s[56:57]
	s_cbranch_execz .LBB4_85
; %bb.89:                               ;   in Loop: Header=BB4_86 Depth=2
	s_sleep 1
	s_trap 2
	ds_read_b64 v[10:11], v0
	s_andn2_b64 s[54:55], s[54:55], exec
	s_waitcnt lgkmcnt(0)
	v_cmp_ge_u64_e32 vcc, v[10:11], v[36:37]
	s_orn2_b64 vcc, vcc, exec
	s_branch .LBB4_85
.LBB4_90:                               ;   in Loop: Header=BB4_49 Depth=1
	s_or_b64 exec, exec, s[50:51]
	s_and_saveexec_b64 vcc, s[52:53]
	s_xor_b64 vcc, exec, vcc
	s_cbranch_execz .LBB4_92
; %bb.91:                               ;   in Loop: Header=BB4_49 Depth=1
	ds_write_b32 v0, v54
	s_trap 2
.LBB4_92:                               ;   in Loop: Header=BB4_49 Depth=1
	s_or_b64 exec, exec, s[48:49]
	;;#ASMSTART
	s_wakeup
	;;#ASMEND
.LBB4_93:                               ;   in Loop: Header=BB4_49 Depth=1
	s_or_b64 exec, exec, s[46:47]
.LBB4_94:                               ;   in Loop: Header=BB4_49 Depth=1
	s_andn2_saveexec_b64 vcc, s[44:45]
	s_cbranch_execz .LBB4_96
; %bb.95:                               ;   in Loop: Header=BB4_49 Depth=1
	s_waitcnt vmcnt(0) lgkmcnt(0)
	buffer_wbinvl1_vol
	s_barrier
.LBB4_96:                               ;   in Loop: Header=BB4_49 Depth=1
	s_or_b64 exec, exec, vcc
.LBB4_97:                               ;   in Loop: Header=BB4_49 Depth=1
	s_or_b64 exec, exec, s[22:23]
	s_trap 2
	ds_read_b32 v10, v0
	v_and_b32_e32 v0, 0x4000, v2
	v_cmp_ne_u32_e32 vcc, 0, v0
	s_and_b64 vcc, s[38:39], vcc
	s_and_saveexec_b64 s[22:23], vcc
	s_cbranch_execz .LBB4_116
; %bb.98:                               ;   in Loop: Header=BB4_49 Depth=1
	s_and_saveexec_b64 vcc, s[34:35]
	s_xor_b64 s[44:45], exec, vcc
	s_cbranch_execz .LBB4_113
; %bb.99:                               ;   in Loop: Header=BB4_49 Depth=1
	s_and_saveexec_b64 s[46:47], s[14:15]
	s_cbranch_execz .LBB4_112
; %bb.100:                              ;   in Loop: Header=BB4_49 Depth=1
	s_mov_b64 s[50:51], exec
	v_mbcnt_lo_u32_b32 v0, s50, 0
	v_mbcnt_hi_u32_b32 v0, s51, v0
	v_cmp_eq_u32_e32 vcc, 0, v0
	s_waitcnt vmcnt(0) lgkmcnt(0)
	buffer_wbinvl1_vol
	s_and_saveexec_b64 s[48:49], vcc
	s_cbranch_execz .LBB4_102
; %bb.101:                              ;   in Loop: Header=BB4_49 Depth=1
	s_bcnt1_i32_b64 vcc_lo, s[50:51]
	v_mov_b32_e32 v12, vcc_lo
	v_mov_b32_e32 v13, v24
	ds_add_u64 v0, v[12:13]
	s_trap 2
.LBB4_102:                              ;   in Loop: Header=BB4_49 Depth=1
	s_or_b64 exec, exec, s[48:49]
	s_trap 2
	ds_read_b64 v[12:13], v0
	v_add_co_u32_e32 v36, vcc, v36, v52
	v_addc_co_u32_e32 v37, vcc, 0, v37, vcc
	s_waitcnt lgkmcnt(0)
	v_cmp_lt_u64_e32 vcc, v[12:13], v[36:37]
	s_and_saveexec_b64 s[48:49], vcc
	s_cbranch_execz .LBB4_111
; %bb.103:                              ;   in Loop: Header=BB4_49 Depth=1
	s_mov_b32 s60, 0
	s_mov_b64 s[50:51], 0
                                        ; implicit-def: $sgpr52_sgpr53
                                        ; implicit-def: $sgpr54_sgpr55
	s_branch .LBB4_105
.LBB4_104:                              ;   in Loop: Header=BB4_105 Depth=2
	s_or_b64 exec, exec, s[58:59]
	s_and_b64 vcc, exec, vcc
	s_or_b64 s[50:51], vcc, s[50:51]
	s_andn2_b64 vcc, s[52:53], exec
	s_and_b64 s[52:53], s[54:55], exec
	s_or_b64 s[52:53], vcc, s[52:53]
	s_andn2_b64 exec, exec, s[50:51]
	s_cbranch_execz .LBB4_109
.LBB4_105:                              ;   Parent Loop BB4_49 Depth=1
                                        ; =>  This Inner Loop Header: Depth=2
	s_add_i32 s60, s60, 1
	s_cmpk_lg_i32 s60, 0x2710
	s_cselect_b64 s[56:57], -1, 0
	s_and_b64 vcc, exec, s[56:57]
                                        ; implicit-def: $sgpr58_sgpr59
	s_cbranch_vccnz .LBB4_107
; %bb.106:                              ;   in Loop: Header=BB4_105 Depth=2
	s_trap 2
	ds_read_b64 v[12:13], v0
	s_andn2_b64 s[56:57], s[56:57], exec
	s_mov_b32 s60, 0
	s_mov_b64 s[58:59], -1
	s_waitcnt lgkmcnt(0)
	flat_load_dword v0, v[12:13] glc
	s_waitcnt vmcnt(0) lgkmcnt(0)
	buffer_invl2
	buffer_wbinvl1_vol
	v_cmp_eq_u32_e32 vcc, 0, v0
	s_and_b64 vcc, vcc, exec
	s_or_b64 s[56:57], s[56:57], vcc
.LBB4_107:                              ;   in Loop: Header=BB4_105 Depth=2
	s_andn2_b64 s[54:55], s[54:55], exec
	s_and_b64 s[58:59], s[58:59], exec
	s_mov_b64 vcc, -1
	s_or_b64 s[54:55], s[54:55], s[58:59]
	s_and_saveexec_b64 s[58:59], s[56:57]
	s_cbranch_execz .LBB4_104
; %bb.108:                              ;   in Loop: Header=BB4_105 Depth=2
	s_sleep 1
	s_trap 2
	ds_read_b64 v[12:13], v0
	s_andn2_b64 s[54:55], s[54:55], exec
	s_waitcnt lgkmcnt(0)
	v_cmp_ge_u64_e32 vcc, v[12:13], v[36:37]
	s_orn2_b64 vcc, vcc, exec
	s_branch .LBB4_104
.LBB4_109:                              ;   in Loop: Header=BB4_49 Depth=1
	s_or_b64 exec, exec, s[50:51]
	s_and_saveexec_b64 vcc, s[52:53]
	s_xor_b64 vcc, exec, vcc
	s_cbranch_execz .LBB4_111
; %bb.110:                              ;   in Loop: Header=BB4_49 Depth=1
	ds_write_b32 v0, v54
	s_trap 2
.LBB4_111:                              ;   in Loop: Header=BB4_49 Depth=1
	s_or_b64 exec, exec, s[48:49]
	;;#ASMSTART
	s_wakeup
	;;#ASMEND
.LBB4_112:                              ;   in Loop: Header=BB4_49 Depth=1
	s_or_b64 exec, exec, s[46:47]
.LBB4_113:                              ;   in Loop: Header=BB4_49 Depth=1
	s_andn2_saveexec_b64 vcc, s[44:45]
	s_cbranch_execz .LBB4_115
; %bb.114:                              ;   in Loop: Header=BB4_49 Depth=1
	s_waitcnt vmcnt(0) lgkmcnt(0)
	buffer_wbinvl1_vol
	s_barrier
.LBB4_115:                              ;   in Loop: Header=BB4_49 Depth=1
	s_or_b64 exec, exec, vcc
.LBB4_116:                              ;   in Loop: Header=BB4_49 Depth=1
	s_or_b64 exec, exec, s[22:23]
	s_trap 2
	ds_read_b64 v[12:13], v0
	s_waitcnt lgkmcnt(0)
	v_readfirstlane_b32 s22, v12
	v_readfirstlane_b32 s23, v13
	s_cmp_eq_u64 s[22:23], 0
	s_cselect_b64 s[22:23], -1, 0
	s_or_b64 vcc, s[22:23], s[22:23]
	s_mov_b64 s[22:23], 0
	s_and_b64 vcc, exec, vcc
	s_cbranch_vccnz .LBB4_145
; %bb.117:                              ;   in Loop: Header=BB4_49 Depth=1
	s_mov_b64 s[22:23], -1
	s_and_saveexec_b64 s[44:45], s[16:17]
	s_cbranch_execz .LBB4_119
; %bb.118:                              ;   in Loop: Header=BB4_49 Depth=1
	ds_read_b32 v0, v0 offset:720
	s_waitcnt lgkmcnt(0)
	v_and_b32_e32 v0, 15, v0
	v_cmp_eq_u32_e32 vcc, 0, v0
	s_orn2_b64 s[22:23], vcc, exec
.LBB4_119:                              ;   in Loop: Header=BB4_49 Depth=1
	s_or_b64 exec, exec, s[44:45]
	s_and_saveexec_b64 s[44:45], s[18:19]
	s_cbranch_execz .LBB4_121
; %bb.120:                              ;   in Loop: Header=BB4_49 Depth=1
	ds_read_b32 v0, v0 offset:784
	s_waitcnt lgkmcnt(0)
	v_and_b32_e32 v0, 15, v0
	v_cmp_eq_u32_e32 vcc, 0, v0
	s_and_b64 vcc, s[22:23], vcc
	s_andn2_b64 s[22:23], s[22:23], exec
	s_and_b64 vcc, vcc, exec
	s_or_b64 s[22:23], s[22:23], vcc
.LBB4_121:                              ;   in Loop: Header=BB4_49 Depth=1
	s_or_b64 exec, exec, s[44:45]
	v_cmp_eq_u32_e32 vcc, 0, v10
	s_xor_b64 s[22:23], s[22:23], -1
	v_cndmask_b32_e32 v57, 0, v50, vcc
	v_cndmask_b32_e64 v0, 0, 1, s[22:23]
	v_mov_b32_e32 v18, 0
	v_lshlrev_b32_e32 v55, 1, v57
	s_mov_b64 s[46:47], -1
	;;#ASMSTART
	;;#ASMEND
	v_cmp_ne_u32_e32 vcc, 0, v0
	s_cbranch_vccz .LBB4_123
; %bb.122:                              ;   in Loop: Header=BB4_49 Depth=1
	v_mov_b32_e32 v19, v61
	v_mov_b32_e32 v10, v60
	s_and_saveexec_b64 s[22:23], s[46:47]
	s_cbranch_execnz .LBB4_136
	s_branch .LBB4_144
.LBB4_123:                              ;   in Loop: Header=BB4_49 Depth=1
	v_lshrrev_b32_e32 v0, 10, v57
	v_sub_u32_e32 v45, v0, v60
	v_cmp_lt_i32_e32 vcc, 0, v45
	s_and_saveexec_b64 s[22:23], vcc
	s_cbranch_execz .LBB4_127
; %bb.124:                              ;   in Loop: Header=BB4_49 Depth=1
	v_accvgpr_write_b32 a12, v46
	v_accvgpr_write_b32 a13, v47
	s_trap 2
	ds_read_b128 v[10:13], v0
	ds_read_b64 v[46:47], v0
	v_accvgpr_write_b32 a26, v0
	v_accvgpr_read_b32 v0, a18
	v_accvgpr_write_b32 a8, v56
	s_waitcnt lgkmcnt(0)
	v_add_co_u32_e32 v56, vcc, v10, v0
	v_accvgpr_read_b32 v1, a17
	v_accvgpr_write_b32 a23, v57
	v_accvgpr_write_b32 a10, v58
	v_addc_co_u32_e32 v57, vcc, v11, v1, vcc
	v_accvgpr_write_b32 a11, v59
	v_add_co_u32_e32 v58, vcc, v12, v0
	v_addc_co_u32_e32 v59, vcc, v13, v1, vcc
	v_accvgpr_write_b32 a16, v60
	v_add_co_u32_e32 v60, vcc, v46, v0
	v_accvgpr_write_b32 a14, v24
	v_accvgpr_write_b32 a9, v33
	v_accvgpr_write_b32 a3, v61
	v_addc_co_u32_e32 v61, vcc, v47, v1, vcc
	s_mov_b64 s[44:45], 0
.LBB4_125:                              ;   Parent Loop BB4_49 Depth=1
                                        ; =>  This Inner Loop Header: Depth=2
	global_load_dwordx4 v[14:17], v[56:57], off glc slc
	global_load_dwordx4 v[10:13], v[56:57], off offset:1024 glc slc
	global_load_dwordx4 v[22:25], v[58:59], off glc slc
	global_load_dwordx4 v[18:21], v[58:59], off offset:1024 glc slc
	v_add_co_u32_e32 v56, vcc, v56, v41
	v_addc_co_u32_e32 v57, vcc, v57, v40, vcc
	v_add_co_u32_e32 v58, vcc, v58, v41
	v_addc_co_u32_e32 v59, vcc, v59, v40, vcc
	v_sub_u32_e32 v45, v45, v52
	v_cmp_gt_i32_e32 vcc, 1, v45
	s_or_b64 s[44:45], vcc, s[44:45]
	s_waitcnt vmcnt(0)
	v_lshrrev_b32_e32 v0, 16, v14
	v_lshrrev_b32_e32 v1, 16, v15
	;; [unrolled: 1-line block ×12, first 2 shown]
	v_fma_f16 v14, v46, v14, v22
	v_fma_f16 v15, v46, v15, v23
	;; [unrolled: 1-line block ×4, first 2 shown]
	v_lshrrev_b32_e32 v22, 16, v18
	v_lshrrev_b32_e32 v23, 16, v19
	;; [unrolled: 1-line block ×4, first 2 shown]
	v_fma_f16 v10, v46, v10, v18
	v_fma_f16 v18, v46, v11, v19
	;; [unrolled: 1-line block ×8, first 2 shown]
	v_and_b32_e32 v12, 0xffff, v14
	v_and_b32_e32 v14, 0xffff, v16
	v_fma_f16 v16, v46, v33, v22
	v_fma_f16 v20, v46, v47, v23
	v_and_b32_e32 v21, 0xffff, v10
	v_fma_f16 v10, v46, v49, v24
	v_fma_f16 v22, v46, v51, v25
	v_lshlrev_b32_e32 v1, 16, v1
	v_lshlrev_b32_e32 v0, 16, v0
	;; [unrolled: 1-line block ×4, first 2 shown]
	v_and_b32_e32 v23, 0xffff, v11
	v_lshlrev_b32_e32 v20, 16, v20
	v_lshlrev_b32_e32 v16, 16, v16
	;; [unrolled: 1-line block ×4, first 2 shown]
	v_or_b32_sdwa v11, v1, v15 dst_sel:DWORD dst_unused:UNUSED_PAD src0_sel:DWORD src1_sel:WORD_0
	v_or_b32_e32 v10, v0, v12
	v_or_b32_sdwa v13, v3, v17 dst_sel:DWORD dst_unused:UNUSED_PAD src0_sel:DWORD src1_sel:WORD_0
	v_or_b32_e32 v12, v24, v14
	v_or_b32_sdwa v15, v20, v18 dst_sel:DWORD dst_unused:UNUSED_PAD src0_sel:DWORD src1_sel:WORD_0
	v_or_b32_e32 v14, v16, v21
	v_or_b32_sdwa v17, v22, v19 dst_sel:DWORD dst_unused:UNUSED_PAD src0_sel:DWORD src1_sel:WORD_0
	v_or_b32_e32 v16, v25, v23
	global_store_dwordx4 v[60:61], v[10:13], off glc slc
	global_store_dwordx4 v[60:61], v[14:17], off offset:1024 glc slc
	v_add_co_u32_e32 v60, vcc, v60, v41
	v_addc_co_u32_e32 v61, vcc, v61, v40, vcc
	s_andn2_b64 exec, exec, s[44:45]
	s_cbranch_execnz .LBB4_125
; %bb.126:                              ;   in Loop: Header=BB4_49 Depth=1
	s_or_b64 exec, exec, s[44:45]
	v_accvgpr_read_b32 v59, a11
	v_accvgpr_read_b32 v47, a13
	;; [unrolled: 1-line block ×12, first 2 shown]
	v_mov_b32_e32 v54, 1
	v_accvgpr_read_b32 v57, a23
	v_accvgpr_read_b32 v0, a26
.LBB4_127:                              ;   in Loop: Header=BB4_49 Depth=1
	s_or_b64 exec, exec, s[22:23]
	v_lshlrev_b32_e32 v22, 11, v0
	v_cmp_ne_u32_e32 vcc, v55, v22
	s_mov_b64 s[46:47], 0
	v_mov_b32_e32 v18, 0
                                        ; implicit-def: $vgpr19
                                        ; implicit-def: $vgpr10
	s_and_saveexec_b64 s[44:45], vcc
	s_cbranch_execz .LBB4_135
; %bb.128:                              ;   in Loop: Header=BB4_49 Depth=1
	v_lshlrev_b32_e32 v1, 6, v45
	v_accvgpr_read_b32 v3, a15
	v_sub_u32_e32 v1, v3, v1
	v_ashrrev_i32_e32 v3, 31, v1
	v_lshrrev_b32_e32 v3, 26, v3
	v_add_u32_e32 v3, v1, v3
	v_ashrrev_i32_e32 v11, 6, v3
	v_and_b32_e32 v3, 0xffffffc0, v3
	v_sub_u32_e32 v23, v1, v3
	v_sub_u32_e32 v0, v55, v22
	v_lshlrev_b32_e32 v1, 4, v23
	v_lshl_add_u32 v10, v11, 10, v1
	v_ashrrev_i32_e32 v1, 31, v0
	v_lshrrev_b32_e32 v1, 22, v1
	v_add_u32_e32 v1, v0, v1
	v_accvgpr_write_b32 a10, v24
	v_and_b32_e32 v24, 0xfffffc00, v1
	v_sub_u32_e32 v26, v0, v24
	v_ashrrev_i32_e32 v3, 10, v1
	v_cmp_lt_i32_e32 vcc, 15, v26
	v_sub_u32_e32 v27, v0, v10
	v_addc_co_u32_e64 v0, s[22:23], 0, v3, vcc
	v_sub_u32_e32 v25, v0, v11
	v_cmp_lt_i32_e64 s[22:23], 15, v27
	s_and_saveexec_b64 s[46:47], s[22:23]
	s_cbranch_execz .LBB4_132
; %bb.129:                              ;   in Loop: Header=BB4_49 Depth=1
	s_trap 2
	ds_read_b128 v[16:19], v0
	v_add_u32_e32 v0, v10, v22
	ds_read_b64 v[14:15], v0
	v_ashrrev_i32_e32 v1, 31, v0
	v_accvgpr_write_b32 a8, v58
	s_waitcnt lgkmcnt(0)
	v_add_co_u32_e64 v16, s[22:23], v16, v0
	v_addc_co_u32_e64 v17, s[22:23], v17, v1, s[22:23]
	v_add_co_u32_e64 v18, s[22:23], v18, v0
	v_addc_co_u32_e64 v19, s[22:23], v19, v1, s[22:23]
	v_add_co_u32_e64 v20, s[22:23], v14, v0
	v_accvgpr_write_b32 a3, v57
	v_mov_b32_e32 v53, v33
	v_accvgpr_write_b32 a9, v59
	v_mov_b32_e32 v54, v56
	v_addc_co_u32_e64 v21, s[22:23], v15, v1, s[22:23]
	s_mov_b64 s[48:49], 0
	v_accvgpr_read_b32 v0, a21
.LBB4_130:                              ;   Parent Loop BB4_49 Depth=1
                                        ; =>  This Inner Loop Header: Depth=2
	global_load_dwordx4 v[10:13], v[16:17], off glc slc
	global_load_dwordx4 v[56:59], v[18:19], off glc slc
	v_add_co_u32_e64 v16, s[22:23], v16, v51
	v_addc_co_u32_e64 v17, s[22:23], v17, v0, s[22:23]
	v_add_co_u32_e64 v18, s[22:23], v18, v51
	v_addc_co_u32_e64 v19, s[22:23], v19, v0, s[22:23]
	v_sub_u32_e32 v27, v27, v49
	v_cmp_gt_i32_e64 s[22:23], 16, v27
	s_or_b64 s[48:49], s[22:23], s[48:49]
	v_sub_u32_e32 v25, v25, v52
	s_waitcnt vmcnt(0)
	v_lshrrev_b32_e32 v0, 16, v10
	v_lshrrev_b32_e32 v1, 16, v11
	;; [unrolled: 1-line block ×8, first 2 shown]
	v_fma_f16 v10, v14, v10, v56
	v_fma_f16 v12, v14, v12, v58
	;; [unrolled: 1-line block ×8, first 2 shown]
	v_and_b32_e32 v10, 0xffff, v10
	v_and_b32_e32 v12, 0xffff, v12
	v_lshlrev_b32_e32 v1, 16, v1
	v_lshlrev_b32_e32 v0, 16, v0
	;; [unrolled: 1-line block ×4, first 2 shown]
	v_accvgpr_read_b32 v51, a20
	v_or_b32_sdwa v11, v1, v11 dst_sel:DWORD dst_unused:UNUSED_PAD src0_sel:DWORD src1_sel:WORD_0
	v_or_b32_e32 v10, v0, v10
	v_or_b32_sdwa v13, v15, v13 dst_sel:DWORD dst_unused:UNUSED_PAD src0_sel:DWORD src1_sel:WORD_0
	v_or_b32_e32 v12, v3, v12
	v_accvgpr_read_b32 v0, a21
	global_store_dwordx4 v[20:21], v[10:13], off glc slc
	v_add_co_u32_e64 v20, s[22:23], v20, v51
	v_accvgpr_read_b32 v49, a19
	v_addc_co_u32_e64 v21, s[22:23], v21, v0, s[22:23]
	s_andn2_b64 exec, exec, s[48:49]
	s_cbranch_execnz .LBB4_130
; %bb.131:                              ;   in Loop: Header=BB4_49 Depth=1
	s_or_b64 exec, exec, s[48:49]
	v_accvgpr_read_b32 v59, a9
	v_mov_b32_e32 v56, v54
	v_accvgpr_read_b32 v58, a8
	v_mov_b32_e32 v33, v53
	;; [unrolled: 2-line block ×3, first 2 shown]
	v_accvgpr_read_b32 v57, a3
.LBB4_132:                              ;   in Loop: Header=BB4_49 Depth=1
	s_or_b64 exec, exec, s[46:47]
	v_and_b32_e32 v11, 14, v55
	v_cndmask_b32_e32 v55, v26, v11, vcc
	v_cmp_ne_u32_e64 s[22:23], 0, v55
	s_mov_b64 s[46:47], 0
	v_mov_b32_e32 v18, 0
                                        ; implicit-def: $vgpr19
                                        ; implicit-def: $vgpr10
	s_and_saveexec_b64 s[48:49], s[22:23]
	s_cbranch_execz .LBB4_134
; %bb.133:                              ;   in Loop: Header=BB4_49 Depth=1
	v_sub_u32_e32 v0, v26, v11
	v_cndmask_b32_e32 v0, 0, v0, vcc
	v_cmp_lt_i32_e32 vcc, 0, v25
	v_add3_u32 v18, v24, v22, v0
	v_cndmask_b32_e32 v0, 0, v52, vcc
	v_sub_u32_e32 v0, v0, v25
	v_lshl_add_u32 v19, v0, 6, v23
	v_ashrrev_i32_e32 v0, 31, v19
	v_lshrrev_b32_e32 v0, 26, v0
	v_add_u32_e32 v0, v19, v0
	s_mov_b64 s[46:47], exec
	v_ashrrev_i32_e32 v10, 6, v0
.LBB4_134:                              ;   in Loop: Header=BB4_49 Depth=1
	s_or_b64 exec, exec, s[48:49]
	s_and_b64 s[46:47], s[46:47], exec
	v_accvgpr_read_b32 v24, a10
.LBB4_135:                              ;   in Loop: Header=BB4_49 Depth=1
	s_or_b64 exec, exec, s[44:45]
	s_and_saveexec_b64 s[22:23], s[46:47]
	s_cbranch_execz .LBB4_144
.LBB4_136:                              ;   in Loop: Header=BB4_49 Depth=1
	v_ashrrev_i32_e32 v0, 31, v55
	v_lshrrev_b32_e32 v0, 23, v0
	v_add_u32_e32 v0, v55, v0
	v_ashrrev_i32_e32 v22, 9, v0
	v_sub_u32_e32 v20, v22, v10
	v_ashrrev_i32_e32 v0, 31, v19
	v_cmp_lt_i32_e32 vcc, 0, v20
	v_lshrrev_b32_e32 v21, 26, v0
	s_and_saveexec_b64 s[44:45], vcc
	s_cbranch_execz .LBB4_140
; %bb.137:                              ;   in Loop: Header=BB4_49 Depth=1
	v_add_u32_e32 v0, v19, v21
	v_and_b32_e32 v0, 0x7fffffc0, v0
	v_sub_u32_e32 v0, v19, v0
	v_lshlrev_b32_e32 v0, 1, v0
	s_trap 2
	ds_read_b128 v[12:15], v0
	v_lshlrev_b32_e32 v1, 9, v10
	v_add3_u32 v0, v0, v18, v1
	ds_read_b64 v[10:11], v0
	v_ashrrev_i32_e32 v1, 31, v0
	s_waitcnt lgkmcnt(0)
	v_add_co_u32_e32 v12, vcc, v12, v0
	v_addc_co_u32_e32 v13, vcc, v13, v1, vcc
	v_add_co_u32_e32 v14, vcc, v14, v0
	v_addc_co_u32_e32 v15, vcc, v15, v1, vcc
	v_add_co_u32_e32 v16, vcc, v10, v0
	v_mov_b32_e32 v32, v24
	v_addc_co_u32_e32 v17, vcc, v11, v1, vcc
	s_mov_b64 s[46:47], 0
.LBB4_138:                              ;   Parent Loop BB4_49 Depth=1
                                        ; =>  This Inner Loop Header: Depth=2
	flat_load_ushort v0, v[12:13] glc slc
	flat_load_ushort v1, v[12:13] offset:128 glc slc
	flat_load_ushort v3, v[12:13] offset:256 glc slc
	;; [unrolled: 1-line block ×3, first 2 shown]
	flat_load_ushort v23, v[14:15] glc slc
	flat_load_ushort v24, v[14:15] offset:128 glc slc
	flat_load_ushort v25, v[14:15] offset:256 glc slc
	;; [unrolled: 1-line block ×3, first 2 shown]
	v_add_co_u32_e32 v12, vcc, v12, v62
	v_addc_co_u32_e32 v13, vcc, v13, v31, vcc
	v_add_co_u32_e32 v14, vcc, v14, v62
	v_addc_co_u32_e32 v15, vcc, v15, v31, vcc
	v_sub_u32_e32 v20, v20, v52
	v_cmp_gt_i32_e32 vcc, 1, v20
	s_or_b64 s[46:47], vcc, s[46:47]
	s_waitcnt vmcnt(0) lgkmcnt(0)
	v_fma_f16 v0, v0, v10, v23
	v_fma_f16 v1, v1, v10, v24
	;; [unrolled: 1-line block ×4, first 2 shown]
	flat_store_short v[16:17], v0 glc slc
	flat_store_short v[16:17], v1 offset:128 glc slc
	flat_store_short v[16:17], v3 offset:256 glc slc
	;; [unrolled: 1-line block ×3, first 2 shown]
	v_add_co_u32_e32 v16, vcc, v16, v62
	v_addc_co_u32_e32 v17, vcc, v17, v31, vcc
	s_andn2_b64 exec, exec, s[46:47]
	s_cbranch_execnz .LBB4_138
; %bb.139:                              ;   in Loop: Header=BB4_49 Depth=1
	s_or_b64 exec, exec, s[46:47]
	v_mov_b32_e32 v24, v32
.LBB4_140:                              ;   in Loop: Header=BB4_49 Depth=1
	s_or_b64 exec, exec, s[44:45]
	v_lshlrev_b32_e32 v10, 9, v22
	v_cmp_ne_u32_e32 vcc, v55, v10
	s_and_b64 exec, exec, vcc
	s_cbranch_execz .LBB4_144
; %bb.141:                              ;   in Loop: Header=BB4_49 Depth=1
	v_add_u32_e32 v0, v19, v21
	v_and_b32_e32 v0, 0xffffffc0, v0
	v_sub_u32_e32 v0, v19, v0
	v_lshlrev_b32_e32 v1, 6, v20
	v_sub_u32_e32 v0, v0, v1
	v_ashrrev_i32_e32 v1, 31, v0
	v_lshrrev_b32_e32 v1, 26, v1
	v_add_u32_e32 v1, v0, v1
	v_and_b32_e32 v3, 0x7fffffc0, v1
	v_sub_u32_e32 v0, v0, v3
	v_lshlrev_b32_e32 v1, 1, v1
	v_and_b32_e32 v1, 0xffffff80, v1
	v_lshlrev_b32_e32 v0, 1, v0
	v_add3_u32 v10, v1, v0, v10
	v_sub_u32_e32 v19, v55, v10
	v_cmp_lt_i32_e32 vcc, 1, v19
	s_and_b64 exec, exec, vcc
	s_cbranch_execz .LBB4_144
; %bb.142:                              ;   in Loop: Header=BB4_49 Depth=1
	s_trap 2
	ds_read_b128 v[12:15], v0
	v_add_u32_e32 v0, v10, v18
	ds_read_b64 v[10:11], v0
	v_ashrrev_i32_e32 v1, 31, v0
	s_mov_b64 s[44:45], 0
	s_waitcnt lgkmcnt(0)
	v_add_co_u32_e32 v12, vcc, v12, v0
	v_addc_co_u32_e32 v13, vcc, v13, v1, vcc
	v_add_co_u32_e32 v14, vcc, v14, v0
	v_addc_co_u32_e32 v15, vcc, v15, v1, vcc
	;; [unrolled: 2-line block ×3, first 2 shown]
.LBB4_143:                              ;   Parent Loop BB4_49 Depth=1
                                        ; =>  This Inner Loop Header: Depth=2
	flat_load_ushort v0, v[12:13] glc slc
	flat_load_ushort v1, v[14:15] glc slc
	v_add_co_u32_e32 v12, vcc, v12, v30
	v_addc_co_u32_e32 v13, vcc, v13, v48, vcc
	v_add_co_u32_e32 v14, vcc, v14, v30
	v_addc_co_u32_e32 v15, vcc, v15, v48, vcc
	v_sub_u32_e32 v19, v19, v53
	v_cmp_gt_i32_e32 vcc, 2, v19
	s_or_b64 s[44:45], vcc, s[44:45]
	s_waitcnt vmcnt(0) lgkmcnt(0)
	v_fma_f16 v0, v0, v10, v1
	flat_store_short v[16:17], v0 glc slc
	v_add_co_u32_e32 v16, vcc, v16, v30
	v_addc_co_u32_e32 v17, vcc, v17, v48, vcc
	s_andn2_b64 exec, exec, s[44:45]
	s_cbranch_execnz .LBB4_143
.LBB4_144:                              ;   in Loop: Header=BB4_49 Depth=1
	s_or_b64 exec, exec, s[22:23]
	v_cmp_ne_u32_e64 s[22:23], 0, v57
.LBB4_145:                              ;   in Loop: Header=BB4_49 Depth=1
	s_and_saveexec_b64 s[44:45], s[12:13]
	s_cbranch_execz .LBB4_164
; %bb.146:                              ;   in Loop: Header=BB4_49 Depth=1
	s_and_saveexec_b64 vcc, s[34:35]
	s_xor_b64 s[46:47], exec, vcc
	s_cbranch_execz .LBB4_161
; %bb.147:                              ;   in Loop: Header=BB4_49 Depth=1
	s_and_saveexec_b64 s[48:49], s[14:15]
	s_cbranch_execz .LBB4_160
; %bb.148:                              ;   in Loop: Header=BB4_49 Depth=1
	s_mov_b64 s[52:53], exec
	v_mbcnt_lo_u32_b32 v0, s52, 0
	v_mbcnt_hi_u32_b32 v0, s53, v0
	v_cmp_eq_u32_e32 vcc, 0, v0
	s_waitcnt vmcnt(0) lgkmcnt(0)
	buffer_wbinvl1_vol
	s_and_saveexec_b64 s[50:51], vcc
	s_cbranch_execz .LBB4_150
; %bb.149:                              ;   in Loop: Header=BB4_49 Depth=1
	s_bcnt1_i32_b64 vcc_lo, s[52:53]
	v_mov_b32_e32 v10, vcc_lo
	v_mov_b32_e32 v11, v24
	ds_add_u64 v0, v[10:11]
	s_trap 2
.LBB4_150:                              ;   in Loop: Header=BB4_49 Depth=1
	s_or_b64 exec, exec, s[50:51]
	s_trap 2
	ds_read_b64 v[10:11], v0
	v_add_co_u32_e32 v36, vcc, v36, v52
	v_addc_co_u32_e32 v37, vcc, 0, v37, vcc
	s_waitcnt lgkmcnt(0)
	v_cmp_lt_u64_e32 vcc, v[10:11], v[36:37]
	s_and_saveexec_b64 s[50:51], vcc
	s_cbranch_execz .LBB4_159
; %bb.151:                              ;   in Loop: Header=BB4_49 Depth=1
	s_mov_b32 s66, 0
	s_mov_b64 s[52:53], 0
                                        ; implicit-def: $sgpr54_sgpr55
                                        ; implicit-def: $sgpr56_sgpr57
	s_branch .LBB4_153
.LBB4_152:                              ;   in Loop: Header=BB4_153 Depth=2
	s_or_b64 exec, exec, s[60:61]
	s_and_b64 vcc, exec, vcc
	s_or_b64 s[52:53], vcc, s[52:53]
	s_andn2_b64 vcc, s[54:55], exec
	s_and_b64 s[54:55], s[56:57], exec
	s_or_b64 s[54:55], vcc, s[54:55]
	s_andn2_b64 exec, exec, s[52:53]
	s_cbranch_execz .LBB4_157
.LBB4_153:                              ;   Parent Loop BB4_49 Depth=1
                                        ; =>  This Inner Loop Header: Depth=2
	s_add_i32 s66, s66, 1
	s_cmpk_lg_i32 s66, 0x2710
	s_cselect_b64 s[58:59], -1, 0
	s_and_b64 vcc, exec, s[58:59]
                                        ; implicit-def: $sgpr60_sgpr61
	s_cbranch_vccnz .LBB4_155
; %bb.154:                              ;   in Loop: Header=BB4_153 Depth=2
	s_trap 2
	ds_read_b64 v[10:11], v0
	s_andn2_b64 s[58:59], s[58:59], exec
	s_mov_b32 s66, 0
	s_mov_b64 s[60:61], -1
	s_waitcnt lgkmcnt(0)
	flat_load_dword v0, v[10:11] glc
	s_waitcnt vmcnt(0) lgkmcnt(0)
	buffer_invl2
	buffer_wbinvl1_vol
	v_cmp_eq_u32_e32 vcc, 0, v0
	s_and_b64 vcc, vcc, exec
	s_or_b64 s[58:59], s[58:59], vcc
.LBB4_155:                              ;   in Loop: Header=BB4_153 Depth=2
	s_andn2_b64 s[56:57], s[56:57], exec
	s_and_b64 s[60:61], s[60:61], exec
	s_mov_b64 vcc, -1
	s_or_b64 s[56:57], s[56:57], s[60:61]
	s_and_saveexec_b64 s[60:61], s[58:59]
	s_cbranch_execz .LBB4_152
; %bb.156:                              ;   in Loop: Header=BB4_153 Depth=2
	s_sleep 1
	s_trap 2
	ds_read_b64 v[10:11], v0
	s_andn2_b64 s[56:57], s[56:57], exec
	s_waitcnt lgkmcnt(0)
	v_cmp_ge_u64_e32 vcc, v[10:11], v[36:37]
	s_orn2_b64 vcc, vcc, exec
	s_branch .LBB4_152
.LBB4_157:                              ;   in Loop: Header=BB4_49 Depth=1
	s_or_b64 exec, exec, s[52:53]
	s_and_saveexec_b64 vcc, s[54:55]
	s_xor_b64 vcc, exec, vcc
	s_cbranch_execz .LBB4_159
; %bb.158:                              ;   in Loop: Header=BB4_49 Depth=1
	ds_write_b32 v0, v54
	s_trap 2
.LBB4_159:                              ;   in Loop: Header=BB4_49 Depth=1
	s_or_b64 exec, exec, s[50:51]
	;;#ASMSTART
	s_wakeup
	;;#ASMEND
.LBB4_160:                              ;   in Loop: Header=BB4_49 Depth=1
	s_or_b64 exec, exec, s[48:49]
.LBB4_161:                              ;   in Loop: Header=BB4_49 Depth=1
	s_andn2_saveexec_b64 vcc, s[46:47]
	s_cbranch_execz .LBB4_163
; %bb.162:                              ;   in Loop: Header=BB4_49 Depth=1
	s_waitcnt vmcnt(0) lgkmcnt(0)
	buffer_wbinvl1_vol
	s_barrier
.LBB4_163:                              ;   in Loop: Header=BB4_49 Depth=1
	s_or_b64 exec, exec, vcc
.LBB4_164:                              ;   in Loop: Header=BB4_49 Depth=1
	s_or_b64 exec, exec, s[44:45]
	v_and_b32_e32 v10, 16, v2
	v_cmp_ne_u32_e32 vcc, 0, v10
	s_and_b64 vcc, vcc, s[22:23]
	s_and_saveexec_b64 s[22:23], vcc
	s_cbranch_execz .LBB4_166
; %bb.165:                              ;   in Loop: Header=BB4_49 Depth=1
	s_waitcnt vmcnt(0) lgkmcnt(0)
	buffer_wbinvl1_vol
.LBB4_166:                              ;   in Loop: Header=BB4_49 Depth=1
	s_or_b64 exec, exec, s[22:23]
	v_cmp_ne_u32_e32 vcc, 0, v10
	s_xor_b64 s[22:23], s[20:21], -1
	s_and_b64 vcc, vcc, s[22:23]
	s_and_saveexec_b64 s[22:23], vcc
	s_cbranch_execz .LBB4_168
; %bb.167:                              ;   in Loop: Header=BB4_49 Depth=1
	flat_store_dword v[46:47], v54
.LBB4_168:                              ;   in Loop: Header=BB4_49 Depth=1
	s_or_b64 exec, exec, s[22:23]
	v_and_b32_e32 v0, 48, v2
	v_cmp_ne_u32_e32 vcc, 0, v0
	s_and_saveexec_b64 s[22:23], vcc
	s_cbranch_execz .LBB4_170
; %bb.169:                              ;   in Loop: Header=BB4_49 Depth=1
	v_add_co_u32_e32 v8, vcc, 1, v8
	v_addc_co_u32_e32 v9, vcc, 0, v9, vcc
	flat_store_dwordx2 v[28:29], v[8:9]
.LBB4_170:                              ;   in Loop: Header=BB4_49 Depth=1
	s_or_b64 exec, exec, s[22:23]
	v_mov_b32_e32 v11, v50
.LBB4_171:                              ;   in Loop: Header=BB4_49 Depth=1
	s_or_b64 exec, exec, s[42:43]
	s_and_saveexec_b64 s[42:43], s[40:41]
	s_cbranch_execz .LBB4_48
; %bb.172:                              ;   in Loop: Header=BB4_49 Depth=1
	v_and_b32_e32 v0, 12, v2
	v_cmp_ne_u32_e32 vcc, 0, v0
	s_mov_b64 s[40:41], -1
	s_and_saveexec_b64 s[22:23], vcc
	s_cbranch_execz .LBB4_184
; %bb.173:                              ;   in Loop: Header=BB4_49 Depth=1
	v_and_b32_e32 v10, 8, v2
	v_add_co_u32_e32 v14, vcc, v34, v10
	v_addc_co_u32_e32 v15, vcc, 0, v35, vcc
	v_add_co_u32_e32 v12, vcc, 1, v8
	v_addc_co_u32_e32 v13, vcc, 0, v9, vcc
	v_cmp_lt_u64_e32 vcc, v[14:15], v[12:13]
	v_mov_b32_e32 v14, 1
	s_and_saveexec_b64 s[40:41], vcc
	s_cbranch_execz .LBB4_183
; %bb.174:                              ;   in Loop: Header=BB4_49 Depth=1
	s_mov_b64 s[44:45], 0
	v_mov_b32_e32 v14, 0
                                        ; implicit-def: $sgpr46_sgpr47
	s_branch .LBB4_178
.LBB4_175:                              ;   in Loop: Header=BB4_178 Depth=2
	s_or_b64 exec, exec, s[54:55]
	v_mov_b32_e32 v15, 0
	s_orn2_b64 s[52:53], s[52:53], exec
.LBB4_176:                              ;   in Loop: Header=BB4_178 Depth=2
	s_or_b64 exec, exec, s[50:51]
	s_andn2_b64 vcc, s[46:47], exec
	s_and_b64 s[46:47], s[52:53], exec
	s_or_b64 s[46:47], vcc, s[46:47]
	v_mov_b32_e32 v14, v15
.LBB4_177:                              ;   in Loop: Header=BB4_178 Depth=2
	s_or_b64 exec, exec, s[48:49]
	s_waitcnt vmcnt(0) lgkmcnt(0)
	v_add_co_u32_e32 v16, vcc, v34, v10
	v_addc_co_u32_e32 v17, vcc, 0, v35, vcc
	v_cmp_ge_u64_e32 vcc, v[16:17], v[12:13]
	s_xor_b64 s[48:49], s[46:47], -1
	s_or_b64 vcc, s[48:49], vcc
	s_and_b64 vcc, exec, vcc
	s_or_b64 s[44:45], vcc, s[44:45]
	s_andn2_b64 exec, exec, s[44:45]
	s_cbranch_execz .LBB4_182
.LBB4_178:                              ;   Parent Loop BB4_49 Depth=1
                                        ; =>  This Inner Loop Header: Depth=2
	s_sleep 1
	flat_load_dwordx2 v[34:35], v[28:29] glc
	v_and_b32_e32 v0, 64, v2
	v_cmp_eq_u32_e32 vcc, 0, v0
	s_andn2_b64 s[46:47], s[46:47], exec
	s_and_saveexec_b64 s[48:49], vcc
	s_cbranch_execz .LBB4_177
; %bb.179:                              ;   in Loop: Header=BB4_178 Depth=2
	v_add_u32_e32 v15, 1, v14
	v_cmp_lt_i32_e32 vcc, s64, v14
	s_mov_b64 s[52:53], -1
	s_and_saveexec_b64 s[50:51], vcc
	s_cbranch_execz .LBB4_176
; %bb.180:                              ;   in Loop: Header=BB4_178 Depth=2
	s_trap 2
	ds_read_b64 v[14:15], v0
	s_waitcnt vmcnt(0) lgkmcnt(0)
	flat_load_dword v14, v[14:15] glc
	s_waitcnt vmcnt(0) lgkmcnt(0)
	buffer_invl2
	buffer_wbinvl1_vol
	v_cmp_ne_u32_e32 vcc, 0, v14
	s_and_saveexec_b64 s[54:55], vcc
	s_cbranch_execz .LBB4_175
; %bb.181:                              ;   in Loop: Header=BB4_178 Depth=2
	v_or_b32_e32 v2, 64, v2
	s_xor_b64 s[52:53], exec, -1
	ds_write_b32 v0, v14
	s_trap 2
	s_branch .LBB4_175
.LBB4_182:                              ;   in Loop: Header=BB4_49 Depth=1
	s_or_b64 exec, exec, s[44:45]
	v_and_b32_e32 v14, 12, v2
.LBB4_183:                              ;   in Loop: Header=BB4_49 Depth=1
	s_or_b64 exec, exec, s[40:41]
	v_cmp_eq_u32_e32 vcc, 0, v14
	s_orn2_b64 s[40:41], vcc, exec
	;;#ASMSTART
	s_wakeup
	;;#ASMEND
.LBB4_184:                              ;   in Loop: Header=BB4_49 Depth=1
	s_or_b64 exec, exec, s[22:23]
	v_sub_u32_e32 v0, v44, v11
	s_xor_b64 s[22:23], s[40:41], -1
	v_min_i32_e32 v10, v50, v0
	s_and_saveexec_b64 s[40:41], s[22:23]
	s_cbranch_execz .LBB4_198
; %bb.185:                              ;   in Loop: Header=BB4_49 Depth=1
	v_and_b32_e32 v0, 0x108, v2
	v_cmp_ne_u32_e32 vcc, s65, v0
	v_and_b32_e32 v12, 7, v8
	s_and_saveexec_b64 s[22:23], vcc
	s_xor_b64 s[22:23], exec, s[22:23]
                                        ; implicit-def: $vgpr14_vgpr15
; %bb.186:                              ;   in Loop: Header=BB4_49 Depth=1
	v_mov_b32_e32 v15, v24
; %bb.187:                              ;   in Loop: Header=BB4_49 Depth=1
	s_andn2_saveexec_b64 s[22:23], s[22:23]
	s_cbranch_execz .LBB4_189
; %bb.188:                              ;   in Loop: Header=BB4_49 Depth=1
	v_ashrrev_i32_e32 v11, 31, v10
	v_mov_b32_e32 v15, v24
	v_mad_u64_u32 v[16:17], vcc, v12, 24, v[6:7]
	v_lshlrev_b64 v[18:19], 1, v[10:11]
	flat_store_dwordx2 v[16:17], v[18:19] offset:8
.LBB4_189:                              ;   in Loop: Header=BB4_49 Depth=1
	s_or_b64 exec, exec, s[22:23]
	v_and_b32_e32 v0, 0x100, v2
	v_cmp_ne_u32_e32 vcc, 0, v0
	s_mov_b64 s[22:23], -1
                                        ; implicit-def: $vgpr16_vgpr17
	s_and_saveexec_b64 s[44:45], vcc
	s_cbranch_execz .LBB4_193
; %bb.190:                              ;   in Loop: Header=BB4_49 Depth=1
	v_mad_u64_u32 v[18:19], s[22:23], v12, 24, v[6:7]
	v_mov_b32_e32 v14, v19
	v_mad_u64_u32 v[16:17], s[22:23], v15, 24, v[14:15]
	v_mov_b32_e32 v19, v16
	flat_load_dword v0, v[18:19]
                                        ; implicit-def: $vgpr16_vgpr17
	s_waitcnt vmcnt(0) lgkmcnt(0)
	v_cmp_ne_u32_e32 vcc, 1, v0
	v_cmp_eq_u32_e64 s[22:23], 1, v0
	s_and_saveexec_b64 s[46:47], s[22:23]
	s_cbranch_execz .LBB4_192
; %bb.191:                              ;   in Loop: Header=BB4_49 Depth=1
	flat_load_dword v16, v[18:19] offset:4 glc
	s_waitcnt vmcnt(0) lgkmcnt(0)
	v_ashrrev_i32_e32 v17, 31, v16
	v_lshrrev_b64 v[16:17], 1, v[16:17]
.LBB4_192:                              ;   in Loop: Header=BB4_49 Depth=1
	s_or_b64 exec, exec, s[46:47]
	s_orn2_b64 s[22:23], vcc, exec
.LBB4_193:                              ;   in Loop: Header=BB4_49 Depth=1
	s_or_b64 exec, exec, s[44:45]
	s_and_saveexec_b64 vcc, s[22:23]
; %bb.194:                              ;   in Loop: Header=BB4_49 Depth=1
	v_mul_lo_u32 v0, v15, v56
	v_mul_lo_u32 v1, v12, v33
	v_mad_u64_u32 v[16:17], s[22:23], v12, v56, 0
	v_add3_u32 v17, v17, v1, v0
; %bb.195:                              ;   in Loop: Header=BB4_49 Depth=1
	s_or_b64 exec, exec, vcc
	v_lshlrev_b64 v[12:13], 1, v[16:17]
	v_add_co_u32_e32 v12, vcc, v58, v12
	v_addc_co_u32_e32 v13, vcc, v59, v13, vcc
	s_trap 2
	ds_write_b64 v0, v[12:13]
	v_and_b32_e32 v0, 0x2000, v2
	v_cmp_ne_u32_e32 vcc, 0, v0
	s_and_saveexec_b64 s[22:23], vcc
	s_cbranch_execz .LBB4_197
; %bb.196:                              ;   in Loop: Header=BB4_49 Depth=1
	ds_read_b64 v[12:13], v0 offset:584
	s_waitcnt lgkmcnt(0)
	v_add_co_u32_e32 v12, vcc, 1, v12
	v_addc_co_u32_e32 v13, vcc, 0, v13, vcc
	ds_write_b64 v0, v[12:13] offset:584
.LBB4_197:                              ;   in Loop: Header=BB4_49 Depth=1
	s_or_b64 exec, exec, s[22:23]
	v_add_co_u32_e32 v8, vcc, 1, v8
	v_addc_co_u32_e32 v9, vcc, 0, v9, vcc
.LBB4_198:                              ;   in Loop: Header=BB4_49 Depth=1
	s_or_b64 exec, exec, s[40:41]
	s_and_saveexec_b64 s[22:23], s[12:13]
	s_cbranch_execz .LBB4_217
; %bb.199:                              ;   in Loop: Header=BB4_49 Depth=1
	s_and_saveexec_b64 vcc, s[34:35]
	s_xor_b64 s[40:41], exec, vcc
	s_cbranch_execz .LBB4_214
; %bb.200:                              ;   in Loop: Header=BB4_49 Depth=1
	s_and_saveexec_b64 s[44:45], s[14:15]
	s_cbranch_execz .LBB4_213
; %bb.201:                              ;   in Loop: Header=BB4_49 Depth=1
	s_mov_b64 s[48:49], exec
	v_mbcnt_lo_u32_b32 v0, s48, 0
	v_mbcnt_hi_u32_b32 v0, s49, v0
	v_cmp_eq_u32_e32 vcc, 0, v0
	s_waitcnt vmcnt(0) lgkmcnt(0)
	buffer_wbinvl1_vol
	s_and_saveexec_b64 s[46:47], vcc
	s_cbranch_execz .LBB4_203
; %bb.202:                              ;   in Loop: Header=BB4_49 Depth=1
	s_bcnt1_i32_b64 vcc_lo, s[48:49]
	v_mov_b32_e32 v12, vcc_lo
	v_mov_b32_e32 v13, v24
	ds_add_u64 v0, v[12:13]
	s_trap 2
.LBB4_203:                              ;   in Loop: Header=BB4_49 Depth=1
	s_or_b64 exec, exec, s[46:47]
	s_trap 2
	ds_read_b64 v[12:13], v0
	v_add_co_u32_e32 v36, vcc, v36, v52
	v_addc_co_u32_e32 v37, vcc, 0, v37, vcc
	s_waitcnt lgkmcnt(0)
	v_cmp_lt_u64_e32 vcc, v[12:13], v[36:37]
	s_and_saveexec_b64 s[46:47], vcc
	s_cbranch_execz .LBB4_212
; %bb.204:                              ;   in Loop: Header=BB4_49 Depth=1
	s_mov_b32 s58, 0
	s_mov_b64 s[48:49], 0
                                        ; implicit-def: $sgpr50_sgpr51
                                        ; implicit-def: $sgpr52_sgpr53
	s_branch .LBB4_206
.LBB4_205:                              ;   in Loop: Header=BB4_206 Depth=2
	s_or_b64 exec, exec, s[56:57]
	s_and_b64 vcc, exec, vcc
	s_or_b64 s[48:49], vcc, s[48:49]
	s_andn2_b64 vcc, s[50:51], exec
	s_and_b64 s[50:51], s[52:53], exec
	s_or_b64 s[50:51], vcc, s[50:51]
	s_andn2_b64 exec, exec, s[48:49]
	s_cbranch_execz .LBB4_210
.LBB4_206:                              ;   Parent Loop BB4_49 Depth=1
                                        ; =>  This Inner Loop Header: Depth=2
	s_add_i32 s58, s58, 1
	s_cmpk_lg_i32 s58, 0x2710
	s_cselect_b64 s[54:55], -1, 0
	s_and_b64 vcc, exec, s[54:55]
                                        ; implicit-def: $sgpr56_sgpr57
	s_cbranch_vccnz .LBB4_208
; %bb.207:                              ;   in Loop: Header=BB4_206 Depth=2
	s_trap 2
	ds_read_b64 v[12:13], v0
	s_andn2_b64 s[54:55], s[54:55], exec
	s_mov_b32 s58, 0
	s_mov_b64 s[56:57], -1
	s_waitcnt lgkmcnt(0)
	flat_load_dword v0, v[12:13] glc
	s_waitcnt vmcnt(0) lgkmcnt(0)
	buffer_invl2
	buffer_wbinvl1_vol
	v_cmp_eq_u32_e32 vcc, 0, v0
	s_and_b64 vcc, vcc, exec
	s_or_b64 s[54:55], s[54:55], vcc
.LBB4_208:                              ;   in Loop: Header=BB4_206 Depth=2
	s_andn2_b64 s[52:53], s[52:53], exec
	s_and_b64 s[56:57], s[56:57], exec
	s_mov_b64 vcc, -1
	s_or_b64 s[52:53], s[52:53], s[56:57]
	s_and_saveexec_b64 s[56:57], s[54:55]
	s_cbranch_execz .LBB4_205
; %bb.209:                              ;   in Loop: Header=BB4_206 Depth=2
	s_sleep 1
	s_trap 2
	ds_read_b64 v[12:13], v0
	s_andn2_b64 s[52:53], s[52:53], exec
	s_waitcnt lgkmcnt(0)
	v_cmp_ge_u64_e32 vcc, v[12:13], v[36:37]
	s_orn2_b64 vcc, vcc, exec
	s_branch .LBB4_205
.LBB4_210:                              ;   in Loop: Header=BB4_49 Depth=1
	s_or_b64 exec, exec, s[48:49]
	s_and_saveexec_b64 vcc, s[50:51]
	s_xor_b64 vcc, exec, vcc
	s_cbranch_execz .LBB4_212
; %bb.211:                              ;   in Loop: Header=BB4_49 Depth=1
	ds_write_b32 v0, v54
	s_trap 2
.LBB4_212:                              ;   in Loop: Header=BB4_49 Depth=1
	s_or_b64 exec, exec, s[46:47]
	;;#ASMSTART
	s_wakeup
	;;#ASMEND
.LBB4_213:                              ;   in Loop: Header=BB4_49 Depth=1
	s_or_b64 exec, exec, s[44:45]
.LBB4_214:                              ;   in Loop: Header=BB4_49 Depth=1
	s_andn2_saveexec_b64 vcc, s[40:41]
	s_cbranch_execz .LBB4_216
; %bb.215:                              ;   in Loop: Header=BB4_49 Depth=1
	s_waitcnt vmcnt(0) lgkmcnt(0)
	buffer_wbinvl1_vol
	s_barrier
.LBB4_216:                              ;   in Loop: Header=BB4_49 Depth=1
	s_or_b64 exec, exec, vcc
.LBB4_217:                              ;   in Loop: Header=BB4_49 Depth=1
	s_or_b64 exec, exec, s[22:23]
	s_trap 2
	ds_read_b32 v0, v0
	v_cmp_lt_i32_e32 vcc, 0, v10
	v_and_b32_e32 v10, 16, v2
	s_waitcnt lgkmcnt(0)
	v_readfirstlane_b32 s22, v0
	s_cmp_eq_u32 s22, 0
	s_cselect_b64 s[22:23], -1, 0
	s_and_b64 s[22:23], vcc, s[22:23]
	v_cmp_ne_u32_e32 vcc, 0, v10
	s_and_b64 vcc, vcc, s[22:23]
	s_and_saveexec_b64 s[22:23], vcc
	s_cbranch_execz .LBB4_219
; %bb.218:                              ;   in Loop: Header=BB4_49 Depth=1
	s_waitcnt vmcnt(0)
	buffer_wbinvl1_vol
.LBB4_219:                              ;   in Loop: Header=BB4_49 Depth=1
	s_or_b64 exec, exec, s[22:23]
	v_cmp_ne_u32_e32 vcc, 0, v10
	s_xor_b64 s[22:23], s[20:21], -1
	s_and_b64 vcc, vcc, s[22:23]
	s_and_saveexec_b64 s[22:23], vcc
	s_cbranch_execz .LBB4_221
; %bb.220:                              ;   in Loop: Header=BB4_49 Depth=1
	flat_store_dword v[46:47], v54
.LBB4_221:                              ;   in Loop: Header=BB4_49 Depth=1
	s_or_b64 exec, exec, s[22:23]
	v_and_b32_e32 v0, 48, v2
	v_cmp_ne_u32_e32 vcc, 0, v0
	s_and_saveexec_b64 s[22:23], vcc
	s_cbranch_execz .LBB4_47
; %bb.222:                              ;   in Loop: Header=BB4_49 Depth=1
	v_add_co_u32_e32 v8, vcc, 1, v8
	v_addc_co_u32_e32 v9, vcc, 0, v9, vcc
	flat_store_dwordx2 v[28:29], v[8:9]
	s_branch .LBB4_47
.LBB4_223:
	s_or_b64 exec, exec, s[36:37]
	v_accvgpr_read_b32 v27, a7
	v_accvgpr_read_b32 v1, a0
	;; [unrolled: 1-line block ×5, first 2 shown]
.LBB4_224:
	s_or_b64 exec, exec, s[30:31]
                                        ; implicit-def: $vgpr50_vgpr51
                                        ; implicit-def: $vgpr4_vgpr5
                                        ; implicit-def: $vgpr56
                                        ; implicit-def: $vgpr34_vgpr35
                                        ; implicit-def: $vgpr58_vgpr59
                                        ; implicit-def: $vgpr28_vgpr29
                                        ; implicit-def: $vgpr61
                                        ; implicit-def: $vgpr15
                                        ; implicit-def: $vgpr38_vgpr39
.LBB4_225:
	s_andn2_saveexec_b64 s[20:21], s[28:29]
	s_cbranch_execz .LBB4_394
; %bb.226:
	v_pk_mov_b32 v[36:37], 0, 0
	s_and_saveexec_b64 s[22:23], s[6:7]
	s_cbranch_execz .LBB4_393
; %bb.227:
	v_and_b32_e32 v3, 63, v31
	v_cmp_eq_u32_e64 s[12:13], 0, v3
	v_ashrrev_i32_e32 v3, 31, v61
	v_lshrrev_b32_e32 v3, 26, v3
	v_add_u32_e32 v3, v61, v3
	v_ashrrev_i32_e32 v57, 6, v3
	v_and_b32_e32 v3, 0xffffffc0, v3
	v_sub_u32_e32 v0, v61, v3
	v_lshlrev_b32_e32 v3, 11, v57
	v_lshrrev_b32_e32 v48, 6, v1
	v_cmp_le_i32_e64 s[14:15], v0, v15
	v_cmp_gt_i32_e64 s[16:17], 1, v0
	v_accvgpr_write_b32 a15, v0
	v_lshl_add_u32 v0, v0, 4, v3
	v_mov_b32_e32 v3, 0xfffff800
	v_lshl_add_u32 v3, v48, 11, v3
	s_movk_i32 s18, 0x800
	v_accvgpr_write_b32 a1, v31
	s_waitcnt vmcnt(0)
	v_ashrrev_i32_e32 v10, 31, v3
	v_add_co_u32_e64 v31, s[18:19], s18, v3
	v_addc_co_u32_e64 v55, s[18:19], 0, v10, s[18:19]
	v_lshlrev_b32_e32 v62, 10, v48
	s_lshr_b32 s6, s62, 27
	v_add_u32_e32 v3, 0xfffffc00, v62
	s_movk_i32 s18, 0x400
	s_add_i32 s6, s62, s6
	v_ashrrev_i32_e32 v10, 31, v3
	v_add_co_u32_e64 v54, s[18:19], s18, v3
	s_ashr_i32 s58, s6, 5
	v_cmp_ge_i32_e64 s[6:7], v61, v1
	v_cmp_eq_u32_e32 vcc, 64, v1
	v_cmp_ne_u32_e64 s[10:11], 64, v1
	v_cmp_ne_u32_sdwa s[28:29], v25, v1 src0_sel:WORD_0 src1_sel:DWORD
	v_accvgpr_write_b32 a0, v1
	v_accvgpr_write_b32 a16, v0
	v_ashrrev_i32_e32 v1, 31, v0
	v_addc_co_u32_e64 v0, s[18:19], 0, v10, s[18:19]
	v_mov_b32_e32 v3, 0xfffffe00
	v_lshl_add_u32 v3, v48, 9, v3
	s_movk_i32 s18, 0x200
	v_ashrrev_i32_e32 v10, 31, v3
	v_add_co_u32_e64 v30, s[18:19], s18, v3
	v_addc_co_u32_e64 v49, s[18:19], 0, v10, s[18:19]
	v_lshlrev_b32_e32 v44, 7, v48
	v_add_u32_e32 v3, 0xffffff80, v44
	s_movk_i32 s18, 0x80
	v_accvgpr_write_b32 a6, v26
	v_ashrrev_i32_e32 v10, 31, v3
	v_add_co_u32_e64 v3, s[18:19], s18, v3
	v_pk_mov_b32 v[40:41], 0, 0
	v_accvgpr_write_b32 a7, v27
	v_accvgpr_write_b32 a2, v25
	v_mov_b32_e32 v33, 0
	v_accvgpr_write_b32 a17, v1
	v_addc_co_u32_e64 v52, s[18:19], 0, v10, s[18:19]
	s_mov_b64 s[30:31], 0
	s_movk_i32 s59, 0x270e
	s_xor_b64 s[34:35], vcc, -1
	v_pk_mov_b32 v[36:37], v[40:41], v[40:41] op_sel:[0,1]
	v_accvgpr_write_b32 a20, v0
	v_accvgpr_write_b32 a21, v44
	s_trap 2
	s_branch .LBB4_230
.LBB4_228:                              ;   in Loop: Header=BB4_230 Depth=1
	s_or_b64 exec, exec, s[18:19]
.LBB4_229:                              ;   in Loop: Header=BB4_230 Depth=1
	s_or_b64 exec, exec, s[38:39]
	v_add_co_u32_e32 v40, vcc, v40, v38
	v_addc_co_u32_e32 v41, vcc, 0, v41, vcc
	v_cmp_ge_u64_e32 vcc, v[40:41], v[4:5]
	s_or_b64 s[30:31], vcc, s[30:31]
	s_andn2_b64 exec, exec, s[30:31]
	s_cbranch_execz .LBB4_392
.LBB4_230:                              ; =>This Loop Header: Depth=1
                                        ;     Child Loop BB4_241 Depth 2
                                        ;     Child Loop BB4_263 Depth 2
                                        ;     Child Loop BB4_282 Depth 2
                                        ;     Child Loop BB4_302 Depth 2
                                        ;     Child Loop BB4_307 Depth 2
                                        ;     Child Loop BB4_315 Depth 2
                                        ;     Child Loop BB4_320 Depth 2
                                        ;     Child Loop BB4_330 Depth 2
                                        ;     Child Loop BB4_355 Depth 2
                                        ;     Child Loop BB4_377 Depth 2
	v_sub_co_u32_e32 v10, vcc, v4, v40
	v_subb_co_u32_e32 v11, vcc, v5, v41, vcc
	v_cmp_lt_u64_e32 vcc, v[38:39], v[10:11]
	v_cndmask_b32_e64 v43, v11, 0, vcc
	v_cndmask_b32_e32 v42, v10, v38, vcc
	v_add_u32_e32 v10, 15, v42
	v_cmp_eq_u64_e32 vcc, 0, v[42:43]
	v_and_b32_e32 v10, 0x3ffffff0, v10
	s_or_b64 s[36:37], s[6:7], vcc
	v_max_i32_e32 v53, s58, v10
	s_xor_b64 s[18:19], s[36:37], -1
	v_mov_b32_e32 v14, 0
	s_and_saveexec_b64 s[38:39], s[18:19]
	s_cbranch_execz .LBB4_346
; %bb.231:                              ;   in Loop: Header=BB4_230 Depth=1
	s_and_saveexec_b64 s[18:19], s[4:5]
	s_cbranch_execz .LBB4_233
; %bb.232:                              ;   in Loop: Header=BB4_230 Depth=1
	s_trap 2
	ds_read2_b64 v[10:13], v0 offset1:1
	ds_read_b64 v[16:17], v0
	v_add_co_u32_e32 v14, vcc, v40, v50
	v_addc_co_u32_e32 v15, vcc, v41, v51, vcc
	v_lshlrev_b64 v[14:15], 1, v[14:15]
	s_waitcnt lgkmcnt(0)
	v_add_co_u32_e32 v10, vcc, v10, v14
	v_addc_co_u32_e32 v11, vcc, v11, v15, vcc
	ds_write_b64 v0, v[10:11]
	v_add_co_u32_e32 v10, vcc, v12, v14
	v_addc_co_u32_e32 v11, vcc, v13, v15, vcc
	ds_write_b64 v0, v[10:11]
	v_add_co_u32_e32 v10, vcc, v16, v14
	v_addc_co_u32_e32 v11, vcc, v17, v15, vcc
	v_cmp_ne_u64_e32 vcc, 0, v[16:17]
	v_cndmask_b32_e32 v11, 0, v11, vcc
	v_cndmask_b32_e32 v10, 0, v10, vcc
	ds_write_b64 v0, v[10:11]
.LBB4_233:                              ;   in Loop: Header=BB4_230 Depth=1
	s_or_b64 exec, exec, s[18:19]
	v_and_b32_e32 v10, 4, v2
	v_cmp_ne_u32_e32 vcc, 0, v10
	s_mov_b64 s[40:41], -1
	s_and_saveexec_b64 s[18:19], vcc
	s_cbranch_execnz .LBB4_236
; %bb.234:                              ;   in Loop: Header=BB4_230 Depth=1
	s_or_b64 exec, exec, s[18:19]
	s_xor_b64 s[18:19], s[40:41], -1
	s_and_saveexec_b64 s[40:41], s[18:19]
	s_cbranch_execnz .LBB4_247
.LBB4_235:                              ;   in Loop: Header=BB4_230 Depth=1
	s_or_b64 exec, exec, s[40:41]
	s_and_saveexec_b64 s[18:19], s[10:11]
	s_cbranch_execnz .LBB4_256
	s_branch .LBB4_274
.LBB4_236:                              ;   in Loop: Header=BB4_230 Depth=1
	s_waitcnt lgkmcnt(0)
	v_add_co_u32_e32 v10, vcc, 1, v8
	v_addc_co_u32_e32 v11, vcc, 0, v9, vcc
	v_cmp_lt_u64_e32 vcc, v[34:35], v[10:11]
	v_mov_b32_e32 v12, 1
	s_and_saveexec_b64 s[40:41], vcc
	s_cbranch_execz .LBB4_246
; %bb.237:                              ;   in Loop: Header=BB4_230 Depth=1
	s_mov_b64 s[42:43], 0
	v_mov_b32_e32 v12, 0
                                        ; implicit-def: $sgpr44_sgpr45
	s_branch .LBB4_241
.LBB4_238:                              ;   in Loop: Header=BB4_241 Depth=2
	s_or_b64 exec, exec, s[52:53]
	v_mov_b32_e32 v13, 0
	s_orn2_b64 s[50:51], s[50:51], exec
.LBB4_239:                              ;   in Loop: Header=BB4_241 Depth=2
	s_or_b64 exec, exec, s[48:49]
	s_andn2_b64 vcc, s[44:45], exec
	s_and_b64 s[44:45], s[50:51], exec
	s_or_b64 s[44:45], vcc, s[44:45]
	v_mov_b32_e32 v12, v13
.LBB4_240:                              ;   in Loop: Header=BB4_241 Depth=2
	s_or_b64 exec, exec, s[46:47]
	s_waitcnt vmcnt(0) lgkmcnt(0)
	v_cmp_ge_u64_e32 vcc, v[34:35], v[10:11]
	s_xor_b64 s[46:47], s[44:45], -1
	s_or_b64 vcc, s[46:47], vcc
	s_and_b64 vcc, exec, vcc
	s_or_b64 s[42:43], vcc, s[42:43]
	s_andn2_b64 exec, exec, s[42:43]
	s_cbranch_execz .LBB4_245
.LBB4_241:                              ;   Parent Loop BB4_230 Depth=1
                                        ; =>  This Inner Loop Header: Depth=2
	s_sleep 1
	flat_load_dwordx2 v[34:35], v[28:29] glc
	v_and_b32_e32 v13, 64, v2
	v_cmp_eq_u32_e32 vcc, 0, v13
	s_andn2_b64 s[44:45], s[44:45], exec
	s_and_saveexec_b64 s[46:47], vcc
	s_cbranch_execz .LBB4_240
; %bb.242:                              ;   in Loop: Header=BB4_241 Depth=2
	v_add_u32_e32 v13, 1, v12
	v_cmp_lt_i32_e32 vcc, s59, v12
	s_mov_b64 s[50:51], -1
	s_and_saveexec_b64 s[48:49], vcc
	s_cbranch_execz .LBB4_239
; %bb.243:                              ;   in Loop: Header=BB4_241 Depth=2
	s_trap 2
	ds_read_b64 v[12:13], v0
	s_waitcnt vmcnt(0) lgkmcnt(0)
	flat_load_dword v12, v[12:13] glc
	s_waitcnt vmcnt(0) lgkmcnt(0)
	buffer_invl2
	buffer_wbinvl1_vol
	v_cmp_ne_u32_e32 vcc, 0, v12
	s_and_saveexec_b64 s[52:53], vcc
	s_cbranch_execz .LBB4_238
; %bb.244:                              ;   in Loop: Header=BB4_241 Depth=2
	v_or_b32_e32 v2, 64, v2
	s_xor_b64 s[50:51], exec, -1
	ds_write_b32 v0, v12
	s_trap 2
	s_branch .LBB4_238
.LBB4_245:                              ;   in Loop: Header=BB4_230 Depth=1
	s_or_b64 exec, exec, s[42:43]
	v_and_b32_e32 v12, 4, v2
.LBB4_246:                              ;   in Loop: Header=BB4_230 Depth=1
	s_or_b64 exec, exec, s[40:41]
	v_cmp_eq_u32_e32 vcc, 0, v12
	s_orn2_b64 s[40:41], vcc, exec
	;;#ASMSTART
	s_wakeup
	;;#ASMEND
	s_or_b64 exec, exec, s[18:19]
	s_xor_b64 s[18:19], s[40:41], -1
	s_and_saveexec_b64 s[40:41], s[18:19]
	s_cbranch_execz .LBB4_235
.LBB4_247:                              ;   in Loop: Header=BB4_230 Depth=1
	v_and_b32_e32 v10, 0x100, v2
	v_cmp_ne_u32_e32 vcc, 0, v10
	s_waitcnt lgkmcnt(0)
	v_and_b32_e32 v14, 7, v8
	s_mov_b64 s[18:19], -1
                                        ; implicit-def: $vgpr10_vgpr11
	s_and_saveexec_b64 s[42:43], vcc
	s_cbranch_execz .LBB4_251
; %bb.248:                              ;   in Loop: Header=BB4_230 Depth=1
	v_mad_u64_u32 v[12:13], s[18:19], v14, 24, v[6:7]
	flat_load_dword v10, v[12:13]
	s_waitcnt vmcnt(0) lgkmcnt(0)
	v_cmp_ne_u32_e32 vcc, 1, v10
	v_cmp_eq_u32_e64 s[18:19], 1, v10
                                        ; implicit-def: $vgpr10_vgpr11
	s_and_saveexec_b64 s[44:45], s[18:19]
	s_cbranch_execz .LBB4_250
; %bb.249:                              ;   in Loop: Header=BB4_230 Depth=1
	flat_load_dword v10, v[12:13] offset:4 glc
	s_waitcnt vmcnt(0) lgkmcnt(0)
	v_ashrrev_i32_e32 v11, 31, v10
	v_lshrrev_b64 v[10:11], 1, v[10:11]
.LBB4_250:                              ;   in Loop: Header=BB4_230 Depth=1
	s_or_b64 exec, exec, s[44:45]
	s_orn2_b64 s[18:19], vcc, exec
.LBB4_251:                              ;   in Loop: Header=BB4_230 Depth=1
	s_or_b64 exec, exec, s[42:43]
	s_and_saveexec_b64 vcc, s[18:19]
; %bb.252:                              ;   in Loop: Header=BB4_230 Depth=1
	v_mad_i64_i32 v[10:11], s[18:19], v14, v56, 0
; %bb.253:                              ;   in Loop: Header=BB4_230 Depth=1
	s_or_b64 exec, exec, vcc
	v_lshlrev_b64 v[10:11], 1, v[10:11]
	v_add_co_u32_e32 v10, vcc, v58, v10
	v_addc_co_u32_e32 v11, vcc, v59, v11, vcc
	ds_write_b64 v0, v[10:11] offset:728
	v_and_b32_e32 v10, 0x2000, v2
	v_cmp_ne_u32_e32 vcc, 0, v10
	s_and_saveexec_b64 s[18:19], vcc
	s_cbranch_execz .LBB4_255
; %bb.254:                              ;   in Loop: Header=BB4_230 Depth=1
	ds_read_b64 v[10:11], v0 offset:584
	s_waitcnt lgkmcnt(0)
	v_add_co_u32_e32 v10, vcc, 1, v10
	v_addc_co_u32_e32 v11, vcc, 0, v11, vcc
	ds_write_b64 v0, v[10:11] offset:584
.LBB4_255:                              ;   in Loop: Header=BB4_230 Depth=1
	s_or_b64 exec, exec, s[18:19]
	v_add_co_u32_e32 v8, vcc, 1, v8
	v_addc_co_u32_e32 v9, vcc, 0, v9, vcc
	s_or_b64 exec, exec, s[40:41]
	s_and_saveexec_b64 s[18:19], s[10:11]
	s_cbranch_execz .LBB4_274
.LBB4_256:                              ;   in Loop: Header=BB4_230 Depth=1
	s_and_saveexec_b64 vcc, s[28:29]
	s_xor_b64 s[40:41], exec, vcc
	s_cbranch_execz .LBB4_271
; %bb.257:                              ;   in Loop: Header=BB4_230 Depth=1
	s_and_saveexec_b64 s[42:43], s[12:13]
	s_cbranch_execz .LBB4_270
; %bb.258:                              ;   in Loop: Header=BB4_230 Depth=1
	s_mov_b64 s[46:47], exec
	v_mbcnt_lo_u32_b32 v10, s46, 0
	v_mbcnt_hi_u32_b32 v10, s47, v10
	v_cmp_eq_u32_e32 vcc, 0, v10
	s_waitcnt vmcnt(0) lgkmcnt(0)
	buffer_wbinvl1_vol
	s_and_saveexec_b64 s[44:45], vcc
	s_cbranch_execz .LBB4_260
; %bb.259:                              ;   in Loop: Header=BB4_230 Depth=1
	s_bcnt1_i32_b64 vcc_lo, s[46:47]
	v_mov_b32_e32 v32, vcc_lo
	ds_add_u64 v0, v[32:33]
	s_trap 2
.LBB4_260:                              ;   in Loop: Header=BB4_230 Depth=1
	s_or_b64 exec, exec, s[44:45]
	s_trap 2
	ds_read_b64 v[10:11], v0
	v_add_co_u32_e32 v36, vcc, v36, v48
	v_addc_co_u32_e32 v37, vcc, 0, v37, vcc
	s_waitcnt lgkmcnt(0)
	v_cmp_lt_u64_e32 vcc, v[10:11], v[36:37]
	s_and_saveexec_b64 s[44:45], vcc
	s_cbranch_execz .LBB4_269
; %bb.261:                              ;   in Loop: Header=BB4_230 Depth=1
	s_mov_b32 s56, 0
	s_mov_b64 s[46:47], 0
                                        ; implicit-def: $sgpr48_sgpr49
                                        ; implicit-def: $sgpr50_sgpr51
	s_branch .LBB4_263
.LBB4_262:                              ;   in Loop: Header=BB4_263 Depth=2
	s_or_b64 exec, exec, s[54:55]
	s_and_b64 vcc, exec, vcc
	s_or_b64 s[46:47], vcc, s[46:47]
	s_andn2_b64 vcc, s[48:49], exec
	s_and_b64 s[48:49], s[50:51], exec
	s_or_b64 s[48:49], vcc, s[48:49]
	s_andn2_b64 exec, exec, s[46:47]
	s_cbranch_execz .LBB4_267
.LBB4_263:                              ;   Parent Loop BB4_230 Depth=1
                                        ; =>  This Inner Loop Header: Depth=2
	s_add_i32 s56, s56, 1
	s_cmpk_lg_i32 s56, 0x2710
	s_cselect_b64 s[52:53], -1, 0
	s_and_b64 vcc, exec, s[52:53]
                                        ; implicit-def: $sgpr54_sgpr55
	s_cbranch_vccnz .LBB4_265
; %bb.264:                              ;   in Loop: Header=BB4_263 Depth=2
	s_trap 2
	ds_read_b64 v[10:11], v0
	s_andn2_b64 s[52:53], s[52:53], exec
	s_mov_b32 s56, 0
	s_mov_b64 s[54:55], -1
	s_waitcnt lgkmcnt(0)
	flat_load_dword v10, v[10:11] glc
	s_waitcnt vmcnt(0) lgkmcnt(0)
	buffer_invl2
	buffer_wbinvl1_vol
	v_cmp_eq_u32_e32 vcc, 0, v10
	s_and_b64 vcc, vcc, exec
	s_or_b64 s[52:53], s[52:53], vcc
.LBB4_265:                              ;   in Loop: Header=BB4_263 Depth=2
	s_andn2_b64 s[50:51], s[50:51], exec
	s_and_b64 s[54:55], s[54:55], exec
	s_mov_b64 vcc, -1
	s_or_b64 s[50:51], s[50:51], s[54:55]
	s_and_saveexec_b64 s[54:55], s[52:53]
	s_cbranch_execz .LBB4_262
; %bb.266:                              ;   in Loop: Header=BB4_263 Depth=2
	s_sleep 1
	s_trap 2
	ds_read_b64 v[10:11], v0
	s_andn2_b64 s[50:51], s[50:51], exec
	s_waitcnt lgkmcnt(0)
	v_cmp_ge_u64_e32 vcc, v[10:11], v[36:37]
	s_orn2_b64 vcc, vcc, exec
	s_branch .LBB4_262
.LBB4_267:                              ;   in Loop: Header=BB4_230 Depth=1
	s_or_b64 exec, exec, s[46:47]
	s_and_saveexec_b64 vcc, s[48:49]
	s_xor_b64 vcc, exec, vcc
	s_cbranch_execz .LBB4_269
; %bb.268:                              ;   in Loop: Header=BB4_230 Depth=1
	v_mov_b32_e32 v0, 1
	ds_write_b32 v0, v0
	s_trap 2
.LBB4_269:                              ;   in Loop: Header=BB4_230 Depth=1
	s_or_b64 exec, exec, s[44:45]
	;;#ASMSTART
	s_wakeup
	;;#ASMEND
.LBB4_270:                              ;   in Loop: Header=BB4_230 Depth=1
	s_or_b64 exec, exec, s[42:43]
.LBB4_271:                              ;   in Loop: Header=BB4_230 Depth=1
	s_andn2_saveexec_b64 vcc, s[40:41]
	s_cbranch_execz .LBB4_273
; %bb.272:                              ;   in Loop: Header=BB4_230 Depth=1
	s_waitcnt vmcnt(0) lgkmcnt(0)
	buffer_wbinvl1_vol
	s_barrier
.LBB4_273:                              ;   in Loop: Header=BB4_230 Depth=1
	s_or_b64 exec, exec, vcc
.LBB4_274:                              ;   in Loop: Header=BB4_230 Depth=1
	s_or_b64 exec, exec, s[18:19]
	s_trap 2
	ds_read_b32 v10, v0
	v_and_b32_e32 v11, 0x4000, v2
	v_cmp_ne_u32_e32 vcc, 0, v11
	s_and_b64 vcc, s[34:35], vcc
	s_and_saveexec_b64 s[18:19], vcc
	s_cbranch_execz .LBB4_293
; %bb.275:                              ;   in Loop: Header=BB4_230 Depth=1
	s_and_saveexec_b64 vcc, s[28:29]
	s_xor_b64 s[40:41], exec, vcc
	s_cbranch_execz .LBB4_290
; %bb.276:                              ;   in Loop: Header=BB4_230 Depth=1
	s_and_saveexec_b64 s[42:43], s[12:13]
	s_cbranch_execz .LBB4_289
; %bb.277:                              ;   in Loop: Header=BB4_230 Depth=1
	s_mov_b64 s[46:47], exec
	v_mbcnt_lo_u32_b32 v11, s46, 0
	v_mbcnt_hi_u32_b32 v11, s47, v11
	v_cmp_eq_u32_e32 vcc, 0, v11
	s_waitcnt vmcnt(0) lgkmcnt(0)
	buffer_wbinvl1_vol
	s_and_saveexec_b64 s[44:45], vcc
	s_cbranch_execz .LBB4_279
; %bb.278:                              ;   in Loop: Header=BB4_230 Depth=1
	s_bcnt1_i32_b64 vcc_lo, s[46:47]
	v_mov_b32_e32 v32, vcc_lo
	ds_add_u64 v0, v[32:33]
	s_trap 2
.LBB4_279:                              ;   in Loop: Header=BB4_230 Depth=1
	s_or_b64 exec, exec, s[44:45]
	s_trap 2
	ds_read_b64 v[12:13], v0
	v_add_co_u32_e32 v36, vcc, v36, v48
	v_addc_co_u32_e32 v37, vcc, 0, v37, vcc
	s_waitcnt lgkmcnt(0)
	v_cmp_lt_u64_e32 vcc, v[12:13], v[36:37]
	s_and_saveexec_b64 s[44:45], vcc
	s_cbranch_execz .LBB4_288
; %bb.280:                              ;   in Loop: Header=BB4_230 Depth=1
	s_mov_b32 s56, 0
	s_mov_b64 s[46:47], 0
                                        ; implicit-def: $sgpr48_sgpr49
                                        ; implicit-def: $sgpr50_sgpr51
	s_branch .LBB4_282
.LBB4_281:                              ;   in Loop: Header=BB4_282 Depth=2
	s_or_b64 exec, exec, s[54:55]
	s_and_b64 vcc, exec, vcc
	s_or_b64 s[46:47], vcc, s[46:47]
	s_andn2_b64 vcc, s[48:49], exec
	s_and_b64 s[48:49], s[50:51], exec
	s_or_b64 s[48:49], vcc, s[48:49]
	s_andn2_b64 exec, exec, s[46:47]
	s_cbranch_execz .LBB4_286
.LBB4_282:                              ;   Parent Loop BB4_230 Depth=1
                                        ; =>  This Inner Loop Header: Depth=2
	s_add_i32 s56, s56, 1
	s_cmpk_lg_i32 s56, 0x2710
	s_cselect_b64 s[52:53], -1, 0
	s_and_b64 vcc, exec, s[52:53]
                                        ; implicit-def: $sgpr54_sgpr55
	s_cbranch_vccnz .LBB4_284
; %bb.283:                              ;   in Loop: Header=BB4_282 Depth=2
	s_trap 2
	ds_read_b64 v[12:13], v0
	s_andn2_b64 s[52:53], s[52:53], exec
	s_mov_b32 s56, 0
	s_mov_b64 s[54:55], -1
	s_waitcnt lgkmcnt(0)
	flat_load_dword v11, v[12:13] glc
	s_waitcnt vmcnt(0) lgkmcnt(0)
	buffer_invl2
	buffer_wbinvl1_vol
	v_cmp_eq_u32_e32 vcc, 0, v11
	s_and_b64 vcc, vcc, exec
	s_or_b64 s[52:53], s[52:53], vcc
.LBB4_284:                              ;   in Loop: Header=BB4_282 Depth=2
	s_andn2_b64 s[50:51], s[50:51], exec
	s_and_b64 s[54:55], s[54:55], exec
	s_mov_b64 vcc, -1
	s_or_b64 s[50:51], s[50:51], s[54:55]
	s_and_saveexec_b64 s[54:55], s[52:53]
	s_cbranch_execz .LBB4_281
; %bb.285:                              ;   in Loop: Header=BB4_282 Depth=2
	s_sleep 1
	s_trap 2
	ds_read_b64 v[12:13], v0
	s_andn2_b64 s[50:51], s[50:51], exec
	s_waitcnt lgkmcnt(0)
	v_cmp_ge_u64_e32 vcc, v[12:13], v[36:37]
	s_orn2_b64 vcc, vcc, exec
	s_branch .LBB4_281
.LBB4_286:                              ;   in Loop: Header=BB4_230 Depth=1
	s_or_b64 exec, exec, s[46:47]
	s_and_saveexec_b64 vcc, s[48:49]
	s_xor_b64 vcc, exec, vcc
	s_cbranch_execz .LBB4_288
; %bb.287:                              ;   in Loop: Header=BB4_230 Depth=1
	v_mov_b32_e32 v0, 1
	ds_write_b32 v0, v0
	s_trap 2
.LBB4_288:                              ;   in Loop: Header=BB4_230 Depth=1
	s_or_b64 exec, exec, s[44:45]
	;;#ASMSTART
	s_wakeup
	;;#ASMEND
.LBB4_289:                              ;   in Loop: Header=BB4_230 Depth=1
	s_or_b64 exec, exec, s[42:43]
.LBB4_290:                              ;   in Loop: Header=BB4_230 Depth=1
	s_andn2_saveexec_b64 vcc, s[40:41]
	s_cbranch_execz .LBB4_292
; %bb.291:                              ;   in Loop: Header=BB4_230 Depth=1
	s_waitcnt vmcnt(0) lgkmcnt(0)
	buffer_wbinvl1_vol
	s_barrier
.LBB4_292:                              ;   in Loop: Header=BB4_230 Depth=1
	s_or_b64 exec, exec, vcc
.LBB4_293:                              ;   in Loop: Header=BB4_230 Depth=1
	s_or_b64 exec, exec, s[18:19]
	s_trap 2
	ds_read_b64 v[12:13], v0
	v_min_u32_e32 v53, v53, v42
	s_waitcnt lgkmcnt(0)
	v_readfirstlane_b32 s18, v12
	v_readfirstlane_b32 s19, v13
	s_cmp_eq_u64 s[18:19], 0
	s_cselect_b64 s[18:19], -1, 0
	s_or_b64 vcc, s[18:19], s[18:19]
	s_mov_b64 s[18:19], 0
	s_and_b64 vcc, exec, vcc
	s_cbranch_vccnz .LBB4_322
; %bb.294:                              ;   in Loop: Header=BB4_230 Depth=1
	s_mov_b64 s[18:19], -1
	s_and_saveexec_b64 s[40:41], s[14:15]
	s_cbranch_execz .LBB4_296
; %bb.295:                              ;   in Loop: Header=BB4_230 Depth=1
	ds_read_b32 v11, v0 offset:720
	s_waitcnt lgkmcnt(0)
	v_and_b32_e32 v11, 15, v11
	v_cmp_eq_u32_e32 vcc, 0, v11
	s_orn2_b64 s[18:19], vcc, exec
.LBB4_296:                              ;   in Loop: Header=BB4_230 Depth=1
	s_or_b64 exec, exec, s[40:41]
	s_and_saveexec_b64 s[40:41], s[16:17]
	s_cbranch_execz .LBB4_298
; %bb.297:                              ;   in Loop: Header=BB4_230 Depth=1
	ds_read_b32 v11, v0 offset:784
	s_waitcnt lgkmcnt(0)
	v_and_b32_e32 v11, 15, v11
	v_cmp_eq_u32_e32 vcc, 0, v11
	s_and_b64 vcc, s[18:19], vcc
	s_andn2_b64 s[18:19], s[18:19], exec
	s_and_b64 vcc, vcc, exec
	s_or_b64 s[18:19], s[18:19], vcc
.LBB4_298:                              ;   in Loop: Header=BB4_230 Depth=1
	s_or_b64 exec, exec, s[40:41]
	v_cmp_eq_u32_e32 vcc, 0, v10
	s_xor_b64 s[18:19], s[18:19], -1
	v_cndmask_b32_e32 v32, 0, v53, vcc
	v_cndmask_b32_e64 v10, 0, 1, s[18:19]
	v_mov_b32_e32 v18, 0
	v_lshlrev_b32_e32 v60, 1, v32
	s_mov_b64 s[42:43], -1
	;;#ASMSTART
	;;#ASMEND
	v_cmp_ne_u32_e32 vcc, 0, v10
	s_cbranch_vccz .LBB4_300
; %bb.299:                              ;   in Loop: Header=BB4_230 Depth=1
	v_mov_b32_e32 v19, v61
	v_mov_b32_e32 v10, v57
	s_and_saveexec_b64 s[18:19], s[42:43]
	s_cbranch_execnz .LBB4_313
	s_branch .LBB4_321
.LBB4_300:                              ;   in Loop: Header=BB4_230 Depth=1
	v_lshrrev_b32_e32 v0, 10, v32
	v_accvgpr_write_b32 a19, v54
	v_sub_u32_e32 v54, v0, v57
	v_cmp_lt_i32_e32 vcc, 0, v54
	s_and_saveexec_b64 s[18:19], vcc
	s_cbranch_execz .LBB4_304
; %bb.301:                              ;   in Loop: Header=BB4_230 Depth=1
	s_trap 2
	ds_read_b128 v[10:13], v0
	ds_read_b64 v[44:45], v0
	v_accvgpr_write_b32 a23, v0
	v_accvgpr_read_b32 v0, a16
	v_accvgpr_read_b32 v1, a17
	s_waitcnt lgkmcnt(0)
	v_add_co_u32_e32 v46, vcc, v10, v0
	v_addc_co_u32_e32 v47, vcc, v11, v1, vcc
	v_accvgpr_write_b32 a8, v56
	v_add_co_u32_e32 v56, vcc, v12, v0
	v_accvgpr_write_b32 a14, v57
	v_accvgpr_write_b32 a10, v58
	v_addc_co_u32_e32 v57, vcc, v13, v1, vcc
	v_accvgpr_write_b32 a12, v50
	v_accvgpr_write_b32 a11, v59
	s_waitcnt lgkmcnt(0)
	v_add_co_u32_e32 v58, vcc, v44, v0
	v_accvgpr_write_b32 a22, v32
	v_accvgpr_write_b32 a18, v62
	;; [unrolled: 1-line block ×5, first 2 shown]
	v_addc_co_u32_e32 v59, vcc, v45, v1, vcc
	s_mov_b64 s[40:41], 0
.LBB4_302:                              ;   Parent Loop BB4_230 Depth=1
                                        ; =>  This Inner Loop Header: Depth=2
	global_load_dwordx4 v[14:17], v[46:47], off glc slc
	global_load_dwordx4 v[10:13], v[46:47], off offset:1024 glc slc
	global_load_dwordx4 v[22:25], v[56:57], off glc slc
	global_load_dwordx4 v[18:21], v[56:57], off offset:1024 glc slc
	v_add_co_u32_e32 v46, vcc, v46, v31
	v_addc_co_u32_e32 v47, vcc, v47, v55, vcc
	v_add_co_u32_e32 v56, vcc, v56, v31
	v_addc_co_u32_e32 v57, vcc, v57, v55, vcc
	v_sub_u32_e32 v54, v54, v48
	v_cmp_gt_i32_e32 vcc, 1, v54
	s_or_b64 s[40:41], vcc, s[40:41]
	s_waitcnt vmcnt(0)
	v_lshrrev_b32_e32 v27, 16, v14
	v_lshrrev_b32_e32 v45, 16, v15
	;; [unrolled: 1-line block ×4, first 2 shown]
	s_waitcnt vmcnt(1)
	v_lshrrev_b32_e32 v43, 16, v22
	v_lshrrev_b32_e32 v26, 16, v23
	;; [unrolled: 1-line block ×8, first 2 shown]
	v_fma_f16 v14, v44, v14, v22
	v_fma_f16 v15, v44, v15, v23
	v_fma_f16 v16, v44, v16, v24
	v_fma_f16 v17, v44, v17, v25
	s_waitcnt vmcnt(0)
	v_lshrrev_b32_e32 v22, 16, v18
	v_lshrrev_b32_e32 v23, 16, v19
	v_lshrrev_b32_e32 v24, 16, v20
	v_lshrrev_b32_e32 v25, 16, v21
	v_fma_f16 v10, v44, v10, v18
	v_fma_f16 v18, v44, v11, v19
	;; [unrolled: 1-line block ×8, first 2 shown]
	v_and_b32_e32 v14, 0xffff, v14
	v_and_b32_e32 v16, 0xffff, v16
	v_fma_f16 v0, v44, v0, v22
	v_fma_f16 v1, v44, v1, v23
	v_and_b32_e32 v22, 0xffff, v10
	v_fma_f16 v10, v44, v32, v24
	v_fma_f16 v23, v44, v33, v25
	v_and_b32_e32 v24, 0xffff, v11
	v_lshlrev_b32_e32 v11, 16, v13
	v_lshlrev_b32_e32 v12, 16, v12
	;; [unrolled: 1-line block ×8, first 2 shown]
	v_or_b32_sdwa v11, v11, v15 dst_sel:DWORD dst_unused:UNUSED_PAD src0_sel:DWORD src1_sel:WORD_0
	v_or_b32_e32 v10, v12, v14
	v_or_b32_sdwa v13, v13, v17 dst_sel:DWORD dst_unused:UNUSED_PAD src0_sel:DWORD src1_sel:WORD_0
	v_or_b32_e32 v12, v20, v16
	;; [unrolled: 2-line block ×4, first 2 shown]
	global_store_dwordx4 v[58:59], v[10:13], off glc slc
	global_store_dwordx4 v[58:59], v[14:17], off offset:1024 glc slc
	v_add_co_u32_e32 v58, vcc, v58, v31
	v_addc_co_u32_e32 v59, vcc, v59, v55, vcc
	s_andn2_b64 exec, exec, s[40:41]
	s_cbranch_execnz .LBB4_302
; %bb.303:                              ;   in Loop: Header=BB4_230 Depth=1
	s_or_b64 exec, exec, s[40:41]
	v_accvgpr_read_b32 v59, a11
	v_accvgpr_read_b32 v51, a13
	v_accvgpr_read_b32 v61, a3
	v_accvgpr_read_b32 v56, a8
	v_accvgpr_read_b32 v58, a10
	v_accvgpr_read_b32 v50, a12
	v_accvgpr_read_b32 v33, a9
	v_accvgpr_read_b32 v57, a14
	v_accvgpr_read_b32 v62, a18
	v_accvgpr_read_b32 v44, a21
	v_accvgpr_read_b32 v32, a22
	v_accvgpr_read_b32 v0, a23
.LBB4_304:                              ;   in Loop: Header=BB4_230 Depth=1
	s_or_b64 exec, exec, s[18:19]
	v_lshlrev_b32_e32 v22, 11, v0
	v_cmp_ne_u32_e32 vcc, v60, v22
	s_mov_b64 s[42:43], 0
	v_mov_b32_e32 v18, 0
                                        ; implicit-def: $vgpr19
                                        ; implicit-def: $vgpr10
	s_and_saveexec_b64 s[40:41], vcc
	s_cbranch_execz .LBB4_312
; %bb.305:                              ;   in Loop: Header=BB4_230 Depth=1
	v_lshlrev_b32_e32 v1, 6, v54
	v_accvgpr_read_b32 v10, a15
	v_sub_u32_e32 v1, v10, v1
	v_ashrrev_i32_e32 v10, 31, v1
	v_lshrrev_b32_e32 v10, 26, v10
	v_add_u32_e32 v10, v1, v10
	v_ashrrev_i32_e32 v11, 6, v10
	v_and_b32_e32 v10, 0xffffffc0, v10
	v_sub_u32_e32 v23, v1, v10
	v_sub_u32_e32 v0, v60, v22
	v_lshlrev_b32_e32 v1, 4, v23
	v_lshl_add_u32 v10, v11, 10, v1
	v_ashrrev_i32_e32 v1, 31, v0
	v_lshrrev_b32_e32 v1, 22, v1
	v_add_u32_e32 v1, v0, v1
	v_and_b32_e32 v24, 0xfffffc00, v1
	v_sub_u32_e32 v26, v0, v24
	v_ashrrev_i32_e32 v12, 10, v1
	v_cmp_lt_i32_e32 vcc, 15, v26
	v_sub_u32_e32 v27, v0, v10
	v_addc_co_u32_e64 v0, s[18:19], 0, v12, vcc
	v_sub_u32_e32 v25, v0, v11
	v_cmp_lt_i32_e64 s[18:19], 15, v27
	s_mov_b64 s[42:43], exec
	s_and_b64 s[18:19], s[42:43], s[18:19]
	v_accvgpr_read_b32 v54, a19
	s_mov_b64 exec, s[18:19]
	s_cbranch_execz .LBB4_309
; %bb.306:                              ;   in Loop: Header=BB4_230 Depth=1
	s_trap 2
	ds_read_b128 v[16:19], v0
	v_add_u32_e32 v0, v10, v22
	ds_read_b64 v[14:15], v0
	v_ashrrev_i32_e32 v1, 31, v0
	v_accvgpr_write_b32 a8, v50
	s_waitcnt lgkmcnt(0)
	v_add_co_u32_e64 v16, s[18:19], v16, v0
	v_addc_co_u32_e64 v17, s[18:19], v17, v1, s[18:19]
	v_add_co_u32_e64 v18, s[18:19], v18, v0
	v_addc_co_u32_e64 v19, s[18:19], v19, v1, s[18:19]
	s_waitcnt lgkmcnt(0)
	v_add_co_u32_e64 v20, s[18:19], v14, v0
	v_accvgpr_write_b32 a10, v32
	v_accvgpr_write_b32 a3, v33
	;; [unrolled: 1-line block ×3, first 2 shown]
	v_addc_co_u32_e64 v21, s[18:19], v15, v1, s[18:19]
	s_mov_b64 s[44:45], 0
	v_accvgpr_read_b32 v43, a20
.LBB4_307:                              ;   Parent Loop BB4_230 Depth=1
                                        ; =>  This Inner Loop Header: Depth=2
	global_load_dwordx4 v[10:13], v[16:17], off glc slc
	global_load_dwordx4 v[44:47], v[18:19], off glc slc
	v_add_co_u32_e64 v16, s[18:19], v16, v54
	v_addc_co_u32_e64 v17, s[18:19], v17, v43, s[18:19]
	v_add_co_u32_e64 v18, s[18:19], v18, v54
	v_addc_co_u32_e64 v19, s[18:19], v19, v43, s[18:19]
	v_sub_u32_e32 v27, v27, v62
	v_cmp_gt_i32_e64 s[18:19], 16, v27
	s_or_b64 s[44:45], s[18:19], s[44:45]
	v_sub_u32_e32 v25, v25, v48
	s_waitcnt vmcnt(0)
	v_lshrrev_b32_e32 v0, 16, v10
	v_lshrrev_b32_e32 v1, 16, v11
	;; [unrolled: 1-line block ×4, first 2 shown]
	s_waitcnt vmcnt(0)
	v_lshrrev_b32_e32 v33, 16, v44
	v_lshrrev_b32_e32 v50, 16, v45
	;; [unrolled: 1-line block ×4, first 2 shown]
	v_fma_f16 v10, v14, v10, v44
	v_fma_f16 v12, v14, v12, v46
	;; [unrolled: 1-line block ×8, first 2 shown]
	v_and_b32_e32 v10, 0xffff, v10
	v_and_b32_e32 v12, 0xffff, v12
	v_lshlrev_b32_e32 v1, 16, v1
	v_lshlrev_b32_e32 v0, 16, v0
	v_lshlrev_b32_e32 v32, 16, v32
	v_lshlrev_b32_e32 v15, 16, v15
	v_accvgpr_read_b32 v54, a19
	v_or_b32_sdwa v11, v1, v11 dst_sel:DWORD dst_unused:UNUSED_PAD src0_sel:DWORD src1_sel:WORD_0
	v_or_b32_e32 v10, v0, v10
	v_or_b32_sdwa v13, v32, v13 dst_sel:DWORD dst_unused:UNUSED_PAD src0_sel:DWORD src1_sel:WORD_0
	v_or_b32_e32 v12, v15, v12
	global_store_dwordx4 v[20:21], v[10:13], off glc slc
	v_add_co_u32_e64 v20, s[18:19], v20, v54
	v_addc_co_u32_e64 v21, s[18:19], v21, v43, s[18:19]
	s_andn2_b64 exec, exec, s[44:45]
	s_cbranch_execnz .LBB4_307
; %bb.308:                              ;   in Loop: Header=BB4_230 Depth=1
	s_or_b64 exec, exec, s[44:45]
	v_accvgpr_read_b32 v51, a9
	v_accvgpr_read_b32 v50, a8
	;; [unrolled: 1-line block ×5, first 2 shown]
.LBB4_309:                              ;   in Loop: Header=BB4_230 Depth=1
	s_or_b64 exec, exec, s[42:43]
	v_and_b32_e32 v11, 14, v60
	v_cndmask_b32_e32 v60, v26, v11, vcc
	v_cmp_ne_u32_e64 s[18:19], 0, v60
	s_mov_b64 s[42:43], 0
	v_mov_b32_e32 v18, 0
                                        ; implicit-def: $vgpr19
                                        ; implicit-def: $vgpr10
	s_and_saveexec_b64 s[44:45], s[18:19]
	s_cbranch_execz .LBB4_311
; %bb.310:                              ;   in Loop: Header=BB4_230 Depth=1
	v_sub_u32_e32 v0, v26, v11
	v_cndmask_b32_e32 v0, 0, v0, vcc
	v_cmp_lt_i32_e32 vcc, 0, v25
	v_add3_u32 v18, v24, v22, v0
	v_cndmask_b32_e32 v0, 0, v48, vcc
	v_sub_u32_e32 v0, v0, v25
	v_lshl_add_u32 v19, v0, 6, v23
	v_ashrrev_i32_e32 v0, 31, v19
	v_lshrrev_b32_e32 v0, 26, v0
	v_add_u32_e32 v0, v19, v0
	s_mov_b64 s[42:43], exec
	v_ashrrev_i32_e32 v10, 6, v0
.LBB4_311:                              ;   in Loop: Header=BB4_230 Depth=1
	s_or_b64 exec, exec, s[44:45]
	s_and_b64 s[42:43], s[42:43], exec
.LBB4_312:                              ;   in Loop: Header=BB4_230 Depth=1
	s_or_b64 exec, exec, s[40:41]
	v_accvgpr_read_b32 v54, a19
	s_and_saveexec_b64 s[18:19], s[42:43]
	s_cbranch_execz .LBB4_321
.LBB4_313:                              ;   in Loop: Header=BB4_230 Depth=1
	v_ashrrev_i32_e32 v0, 31, v60
	v_lshrrev_b32_e32 v0, 23, v0
	v_add_u32_e32 v0, v60, v0
	v_ashrrev_i32_e32 v22, 9, v0
	v_sub_u32_e32 v20, v22, v10
	v_ashrrev_i32_e32 v0, 31, v19
	v_cmp_lt_i32_e32 vcc, 0, v20
	v_lshrrev_b32_e32 v21, 26, v0
	s_and_saveexec_b64 s[40:41], vcc
	s_cbranch_execz .LBB4_317
; %bb.314:                              ;   in Loop: Header=BB4_230 Depth=1
	v_add_u32_e32 v0, v19, v21
	v_and_b32_e32 v0, 0x7fffffc0, v0
	v_sub_u32_e32 v0, v19, v0
	v_lshlrev_b32_e32 v0, 1, v0
	s_trap 2
	ds_read_b128 v[12:15], v0
	v_lshlrev_b32_e32 v1, 9, v10
	v_add3_u32 v0, v0, v18, v1
	ds_read_b64 v[10:11], v0
	v_ashrrev_i32_e32 v1, 31, v0
	s_waitcnt lgkmcnt(0)
	v_add_co_u32_e32 v12, vcc, v12, v0
	v_addc_co_u32_e32 v13, vcc, v13, v1, vcc
	v_add_co_u32_e32 v14, vcc, v14, v0
	v_addc_co_u32_e32 v15, vcc, v15, v1, vcc
	s_waitcnt lgkmcnt(0)
	v_add_co_u32_e32 v16, vcc, v10, v0
	v_addc_co_u32_e32 v17, vcc, v11, v1, vcc
	s_mov_b64 s[42:43], 0
.LBB4_315:                              ;   Parent Loop BB4_230 Depth=1
                                        ; =>  This Inner Loop Header: Depth=2
	flat_load_ushort v0, v[12:13] glc slc
	flat_load_ushort v1, v[12:13] offset:128 glc slc
	flat_load_ushort v11, v[12:13] offset:256 glc slc
	;; [unrolled: 1-line block ×3, first 2 shown]
	flat_load_ushort v24, v[14:15] glc slc
	flat_load_ushort v25, v[14:15] offset:128 glc slc
	flat_load_ushort v26, v[14:15] offset:256 glc slc
	;; [unrolled: 1-line block ×3, first 2 shown]
	v_add_co_u32_e32 v12, vcc, v12, v30
	v_addc_co_u32_e32 v13, vcc, v13, v49, vcc
	v_add_co_u32_e32 v14, vcc, v14, v30
	v_addc_co_u32_e32 v15, vcc, v15, v49, vcc
	v_sub_u32_e32 v20, v20, v48
	v_cmp_gt_i32_e32 vcc, 1, v20
	s_or_b64 s[42:43], vcc, s[42:43]
	s_waitcnt vmcnt(0) lgkmcnt(0)
	v_fma_f16 v0, v0, v10, v24
	v_fma_f16 v1, v1, v10, v25
	;; [unrolled: 1-line block ×4, first 2 shown]
	flat_store_short v[16:17], v0 glc slc
	flat_store_short v[16:17], v1 offset:128 glc slc
	flat_store_short v[16:17], v11 offset:256 glc slc
	;; [unrolled: 1-line block ×3, first 2 shown]
	v_add_co_u32_e32 v16, vcc, v16, v30
	v_addc_co_u32_e32 v17, vcc, v17, v49, vcc
	s_andn2_b64 exec, exec, s[42:43]
	s_cbranch_execnz .LBB4_315
; %bb.316:                              ;   in Loop: Header=BB4_230 Depth=1
	s_or_b64 exec, exec, s[42:43]
.LBB4_317:                              ;   in Loop: Header=BB4_230 Depth=1
	s_or_b64 exec, exec, s[40:41]
	v_lshlrev_b32_e32 v10, 9, v22
	v_cmp_ne_u32_e32 vcc, v60, v10
	s_and_b64 exec, exec, vcc
	s_cbranch_execz .LBB4_321
; %bb.318:                              ;   in Loop: Header=BB4_230 Depth=1
	v_add_u32_e32 v0, v19, v21
	v_and_b32_e32 v0, 0xffffffc0, v0
	v_sub_u32_e32 v0, v19, v0
	v_lshlrev_b32_e32 v1, 6, v20
	v_sub_u32_e32 v0, v0, v1
	v_ashrrev_i32_e32 v1, 31, v0
	v_lshrrev_b32_e32 v1, 26, v1
	v_add_u32_e32 v1, v0, v1
	v_and_b32_e32 v11, 0x7fffffc0, v1
	v_sub_u32_e32 v0, v0, v11
	v_lshlrev_b32_e32 v1, 1, v1
	v_and_b32_e32 v1, 0xffffff80, v1
	v_lshlrev_b32_e32 v0, 1, v0
	v_add3_u32 v10, v1, v0, v10
	v_sub_u32_e32 v19, v60, v10
	v_cmp_lt_i32_e32 vcc, 1, v19
	s_and_b64 exec, exec, vcc
	s_cbranch_execz .LBB4_321
; %bb.319:                              ;   in Loop: Header=BB4_230 Depth=1
	s_trap 2
	ds_read_b128 v[12:15], v0
	v_add_u32_e32 v0, v10, v18
	ds_read_b64 v[10:11], v0
	v_ashrrev_i32_e32 v1, 31, v0
	s_mov_b64 s[40:41], 0
	s_waitcnt lgkmcnt(0)
	v_add_co_u32_e32 v12, vcc, v12, v0
	v_addc_co_u32_e32 v13, vcc, v13, v1, vcc
	v_add_co_u32_e32 v14, vcc, v14, v0
	v_addc_co_u32_e32 v15, vcc, v15, v1, vcc
	;; [unrolled: 2-line block ×3, first 2 shown]
.LBB4_320:                              ;   Parent Loop BB4_230 Depth=1
                                        ; =>  This Inner Loop Header: Depth=2
	flat_load_ushort v0, v[12:13] glc slc
	flat_load_ushort v1, v[14:15] glc slc
	v_add_co_u32_e32 v12, vcc, v12, v3
	v_addc_co_u32_e32 v13, vcc, v13, v52, vcc
	v_add_co_u32_e32 v14, vcc, v14, v3
	v_addc_co_u32_e32 v15, vcc, v15, v52, vcc
	v_sub_u32_e32 v19, v19, v44
	v_cmp_gt_i32_e32 vcc, 2, v19
	s_or_b64 s[40:41], vcc, s[40:41]
	s_waitcnt vmcnt(0) lgkmcnt(0)
	v_fma_f16 v0, v0, v10, v1
	flat_store_short v[16:17], v0 glc slc
	v_add_co_u32_e32 v16, vcc, v16, v3
	v_addc_co_u32_e32 v17, vcc, v17, v52, vcc
	s_andn2_b64 exec, exec, s[40:41]
	s_cbranch_execnz .LBB4_320
.LBB4_321:                              ;   in Loop: Header=BB4_230 Depth=1
	s_or_b64 exec, exec, s[18:19]
	v_cmp_ne_u32_e64 s[18:19], 0, v32
.LBB4_322:                              ;   in Loop: Header=BB4_230 Depth=1
	s_and_saveexec_b64 s[40:41], s[10:11]
	s_cbranch_execz .LBB4_341
; %bb.323:                              ;   in Loop: Header=BB4_230 Depth=1
	s_and_saveexec_b64 vcc, s[28:29]
	s_xor_b64 s[42:43], exec, vcc
	s_cbranch_execz .LBB4_338
; %bb.324:                              ;   in Loop: Header=BB4_230 Depth=1
	s_and_saveexec_b64 s[44:45], s[12:13]
	s_cbranch_execz .LBB4_337
; %bb.325:                              ;   in Loop: Header=BB4_230 Depth=1
	s_mov_b64 s[48:49], exec
	v_mbcnt_lo_u32_b32 v0, s48, 0
	v_mbcnt_hi_u32_b32 v0, s49, v0
	v_cmp_eq_u32_e32 vcc, 0, v0
	s_waitcnt vmcnt(0) lgkmcnt(0)
	buffer_wbinvl1_vol
	s_and_saveexec_b64 s[46:47], vcc
	s_cbranch_execz .LBB4_327
; %bb.326:                              ;   in Loop: Header=BB4_230 Depth=1
	s_bcnt1_i32_b64 vcc_lo, s[48:49]
	v_mov_b32_e32 v32, vcc_lo
	ds_add_u64 v0, v[32:33]
	s_trap 2
.LBB4_327:                              ;   in Loop: Header=BB4_230 Depth=1
	s_or_b64 exec, exec, s[46:47]
	s_trap 2
	ds_read_b64 v[10:11], v0
	v_add_co_u32_e32 v36, vcc, v36, v48
	v_addc_co_u32_e32 v37, vcc, 0, v37, vcc
	s_waitcnt lgkmcnt(0)
	v_cmp_lt_u64_e32 vcc, v[10:11], v[36:37]
	s_and_saveexec_b64 s[46:47], vcc
	s_cbranch_execz .LBB4_336
; %bb.328:                              ;   in Loop: Header=BB4_230 Depth=1
	s_mov_b32 s60, 0
	s_mov_b64 s[48:49], 0
                                        ; implicit-def: $sgpr50_sgpr51
                                        ; implicit-def: $sgpr52_sgpr53
	s_branch .LBB4_330
.LBB4_329:                              ;   in Loop: Header=BB4_330 Depth=2
	s_or_b64 exec, exec, s[56:57]
	s_and_b64 vcc, exec, vcc
	s_or_b64 s[48:49], vcc, s[48:49]
	s_andn2_b64 vcc, s[50:51], exec
	s_and_b64 s[50:51], s[52:53], exec
	s_or_b64 s[50:51], vcc, s[50:51]
	s_andn2_b64 exec, exec, s[48:49]
	s_cbranch_execz .LBB4_334
.LBB4_330:                              ;   Parent Loop BB4_230 Depth=1
                                        ; =>  This Inner Loop Header: Depth=2
	s_add_i32 s60, s60, 1
	s_cmpk_lg_i32 s60, 0x2710
	s_cselect_b64 s[54:55], -1, 0
	s_and_b64 vcc, exec, s[54:55]
                                        ; implicit-def: $sgpr56_sgpr57
	s_cbranch_vccnz .LBB4_332
; %bb.331:                              ;   in Loop: Header=BB4_330 Depth=2
	s_trap 2
	ds_read_b64 v[10:11], v0
	s_andn2_b64 s[54:55], s[54:55], exec
	s_mov_b32 s60, 0
	s_mov_b64 s[56:57], -1
	s_waitcnt lgkmcnt(0)
	flat_load_dword v0, v[10:11] glc
	s_waitcnt vmcnt(0) lgkmcnt(0)
	buffer_invl2
	buffer_wbinvl1_vol
	v_cmp_eq_u32_e32 vcc, 0, v0
	s_and_b64 vcc, vcc, exec
	s_or_b64 s[54:55], s[54:55], vcc
.LBB4_332:                              ;   in Loop: Header=BB4_330 Depth=2
	s_andn2_b64 s[52:53], s[52:53], exec
	s_and_b64 s[56:57], s[56:57], exec
	s_mov_b64 vcc, -1
	s_or_b64 s[52:53], s[52:53], s[56:57]
	s_and_saveexec_b64 s[56:57], s[54:55]
	s_cbranch_execz .LBB4_329
; %bb.333:                              ;   in Loop: Header=BB4_330 Depth=2
	s_sleep 1
	s_trap 2
	ds_read_b64 v[10:11], v0
	s_andn2_b64 s[52:53], s[52:53], exec
	s_waitcnt lgkmcnt(0)
	v_cmp_ge_u64_e32 vcc, v[10:11], v[36:37]
	s_orn2_b64 vcc, vcc, exec
	s_branch .LBB4_329
.LBB4_334:                              ;   in Loop: Header=BB4_230 Depth=1
	s_or_b64 exec, exec, s[48:49]
	s_and_saveexec_b64 vcc, s[50:51]
	s_xor_b64 vcc, exec, vcc
	s_cbranch_execz .LBB4_336
; %bb.335:                              ;   in Loop: Header=BB4_230 Depth=1
	v_mov_b32_e32 v0, 1
	ds_write_b32 v0, v0
	s_trap 2
.LBB4_336:                              ;   in Loop: Header=BB4_230 Depth=1
	s_or_b64 exec, exec, s[46:47]
	;;#ASMSTART
	s_wakeup
	;;#ASMEND
.LBB4_337:                              ;   in Loop: Header=BB4_230 Depth=1
	s_or_b64 exec, exec, s[44:45]
.LBB4_338:                              ;   in Loop: Header=BB4_230 Depth=1
	s_andn2_saveexec_b64 vcc, s[42:43]
	s_cbranch_execz .LBB4_340
; %bb.339:                              ;   in Loop: Header=BB4_230 Depth=1
	s_waitcnt vmcnt(0) lgkmcnt(0)
	buffer_wbinvl1_vol
	s_barrier
.LBB4_340:                              ;   in Loop: Header=BB4_230 Depth=1
	s_or_b64 exec, exec, vcc
.LBB4_341:                              ;   in Loop: Header=BB4_230 Depth=1
	s_or_b64 exec, exec, s[40:41]
	v_and_b32_e32 v0, 16, v2
	v_cmp_ne_u32_e32 vcc, 0, v0
	s_and_b64 vcc, vcc, s[18:19]
	s_and_saveexec_b64 s[18:19], vcc
	s_cbranch_execz .LBB4_343
; %bb.342:                              ;   in Loop: Header=BB4_230 Depth=1
	s_waitcnt vmcnt(0) lgkmcnt(0)
	buffer_wbinvl1_vol
.LBB4_343:                              ;   in Loop: Header=BB4_230 Depth=1
	s_or_b64 exec, exec, s[18:19]
	v_and_b32_e32 v0, 32, v2
	v_cmp_ne_u32_e32 vcc, 0, v0
	s_and_saveexec_b64 s[18:19], vcc
	s_cbranch_execz .LBB4_345
; %bb.344:                              ;   in Loop: Header=BB4_230 Depth=1
	v_add_co_u32_e32 v8, vcc, 1, v8
	v_addc_co_u32_e32 v9, vcc, 0, v9, vcc
	flat_store_dwordx2 v[28:29], v[8:9]
.LBB4_345:                              ;   in Loop: Header=BB4_230 Depth=1
	s_or_b64 exec, exec, s[18:19]
	v_mov_b32_e32 v14, v53
.LBB4_346:                              ;   in Loop: Header=BB4_230 Depth=1
	s_or_b64 exec, exec, s[38:39]
	s_and_saveexec_b64 s[38:39], s[36:37]
	s_cbranch_execz .LBB4_229
; %bb.347:                              ;   in Loop: Header=BB4_230 Depth=1
	v_and_b32_e32 v0, 4, v2
	v_cmp_ne_u32_e32 vcc, 0, v0
	s_mov_b64 s[36:37], -1
	s_and_saveexec_b64 s[18:19], vcc
	s_cbranch_execnz .LBB4_350
; %bb.348:                              ;   in Loop: Header=BB4_230 Depth=1
	s_or_b64 exec, exec, s[18:19]
	s_xor_b64 s[18:19], s[36:37], -1
	s_and_saveexec_b64 s[36:37], s[18:19]
	s_cbranch_execnz .LBB4_361
.LBB4_349:                              ;   in Loop: Header=BB4_230 Depth=1
	s_or_b64 exec, exec, s[36:37]
	s_and_saveexec_b64 s[18:19], s[10:11]
	s_cbranch_execnz .LBB4_370
	s_branch .LBB4_388
.LBB4_350:                              ;   in Loop: Header=BB4_230 Depth=1
	s_waitcnt lgkmcnt(0)
	v_add_co_u32_e32 v10, vcc, 1, v8
	v_addc_co_u32_e32 v11, vcc, 0, v9, vcc
	v_cmp_lt_u64_e32 vcc, v[34:35], v[10:11]
	v_mov_b32_e32 v12, 1
	s_and_saveexec_b64 s[36:37], vcc
	s_cbranch_execz .LBB4_360
; %bb.351:                              ;   in Loop: Header=BB4_230 Depth=1
	s_mov_b64 s[40:41], 0
	v_mov_b32_e32 v12, 0
                                        ; implicit-def: $sgpr42_sgpr43
	s_branch .LBB4_355
.LBB4_352:                              ;   in Loop: Header=BB4_355 Depth=2
	s_or_b64 exec, exec, s[50:51]
	v_mov_b32_e32 v13, 0
	s_orn2_b64 s[48:49], s[48:49], exec
.LBB4_353:                              ;   in Loop: Header=BB4_355 Depth=2
	s_or_b64 exec, exec, s[46:47]
	s_andn2_b64 vcc, s[42:43], exec
	s_and_b64 s[42:43], s[48:49], exec
	s_or_b64 s[42:43], vcc, s[42:43]
	v_mov_b32_e32 v12, v13
.LBB4_354:                              ;   in Loop: Header=BB4_355 Depth=2
	s_or_b64 exec, exec, s[44:45]
	s_waitcnt vmcnt(0) lgkmcnt(0)
	v_cmp_ge_u64_e32 vcc, v[34:35], v[10:11]
	s_xor_b64 s[44:45], s[42:43], -1
	s_or_b64 vcc, s[44:45], vcc
	s_and_b64 vcc, exec, vcc
	s_or_b64 s[40:41], vcc, s[40:41]
	s_andn2_b64 exec, exec, s[40:41]
	s_cbranch_execz .LBB4_359
.LBB4_355:                              ;   Parent Loop BB4_230 Depth=1
                                        ; =>  This Inner Loop Header: Depth=2
	s_sleep 1
	flat_load_dwordx2 v[34:35], v[28:29] glc
	v_and_b32_e32 v0, 64, v2
	v_cmp_eq_u32_e32 vcc, 0, v0
	s_andn2_b64 s[42:43], s[42:43], exec
	s_and_saveexec_b64 s[44:45], vcc
	s_cbranch_execz .LBB4_354
; %bb.356:                              ;   in Loop: Header=BB4_355 Depth=2
	v_add_u32_e32 v13, 1, v12
	v_cmp_lt_i32_e32 vcc, s59, v12
	s_mov_b64 s[48:49], -1
	s_and_saveexec_b64 s[46:47], vcc
	s_cbranch_execz .LBB4_353
; %bb.357:                              ;   in Loop: Header=BB4_355 Depth=2
	s_trap 2
	ds_read_b64 v[12:13], v0
	s_waitcnt vmcnt(0) lgkmcnt(0)
	flat_load_dword v12, v[12:13] glc
	s_waitcnt vmcnt(0) lgkmcnt(0)
	buffer_invl2
	buffer_wbinvl1_vol
	v_cmp_ne_u32_e32 vcc, 0, v12
	s_and_saveexec_b64 s[50:51], vcc
	s_cbranch_execz .LBB4_352
; %bb.358:                              ;   in Loop: Header=BB4_355 Depth=2
	v_or_b32_e32 v2, 64, v2
	s_xor_b64 s[48:49], exec, -1
	ds_write_b32 v0, v12
	s_trap 2
	s_branch .LBB4_352
.LBB4_359:                              ;   in Loop: Header=BB4_230 Depth=1
	s_or_b64 exec, exec, s[40:41]
	v_and_b32_e32 v12, 4, v2
.LBB4_360:                              ;   in Loop: Header=BB4_230 Depth=1
	s_or_b64 exec, exec, s[36:37]
	v_cmp_eq_u32_e32 vcc, 0, v12
	s_orn2_b64 s[36:37], vcc, exec
	;;#ASMSTART
	s_wakeup
	;;#ASMEND
	s_or_b64 exec, exec, s[18:19]
	s_xor_b64 s[18:19], s[36:37], -1
	s_and_saveexec_b64 s[36:37], s[18:19]
	s_cbranch_execz .LBB4_349
.LBB4_361:                              ;   in Loop: Header=BB4_230 Depth=1
	v_and_b32_e32 v0, 0x100, v2
	v_cmp_ne_u32_e32 vcc, 0, v0
	s_waitcnt lgkmcnt(0)
	v_and_b32_e32 v15, 7, v8
	s_mov_b64 s[18:19], -1
                                        ; implicit-def: $vgpr10_vgpr11
	s_and_saveexec_b64 s[40:41], vcc
	s_cbranch_execz .LBB4_365
; %bb.362:                              ;   in Loop: Header=BB4_230 Depth=1
	v_mad_u64_u32 v[12:13], s[18:19], v15, 24, v[6:7]
	flat_load_dword v0, v[12:13]
                                        ; implicit-def: $vgpr10_vgpr11
	s_waitcnt vmcnt(0) lgkmcnt(0)
	v_cmp_ne_u32_e32 vcc, 1, v0
	v_cmp_eq_u32_e64 s[18:19], 1, v0
	s_and_saveexec_b64 s[42:43], s[18:19]
	s_cbranch_execz .LBB4_364
; %bb.363:                              ;   in Loop: Header=BB4_230 Depth=1
	flat_load_dword v10, v[12:13] offset:4 glc
	s_waitcnt vmcnt(0) lgkmcnt(0)
	v_ashrrev_i32_e32 v11, 31, v10
	v_lshrrev_b64 v[10:11], 1, v[10:11]
.LBB4_364:                              ;   in Loop: Header=BB4_230 Depth=1
	s_or_b64 exec, exec, s[42:43]
	s_orn2_b64 s[18:19], vcc, exec
.LBB4_365:                              ;   in Loop: Header=BB4_230 Depth=1
	s_or_b64 exec, exec, s[40:41]
	s_and_saveexec_b64 vcc, s[18:19]
; %bb.366:                              ;   in Loop: Header=BB4_230 Depth=1
	v_mad_i64_i32 v[10:11], s[18:19], v15, v56, 0
; %bb.367:                              ;   in Loop: Header=BB4_230 Depth=1
	s_or_b64 exec, exec, vcc
	v_lshlrev_b64 v[10:11], 1, v[10:11]
	v_add_co_u32_e32 v10, vcc, v58, v10
	v_addc_co_u32_e32 v11, vcc, v59, v11, vcc
	ds_write_b64 v0, v[10:11] offset:728
	v_and_b32_e32 v0, 0x2000, v2
	v_cmp_ne_u32_e32 vcc, 0, v0
	s_and_saveexec_b64 s[18:19], vcc
	s_cbranch_execz .LBB4_369
; %bb.368:                              ;   in Loop: Header=BB4_230 Depth=1
	ds_read_b64 v[10:11], v0 offset:584
	s_waitcnt lgkmcnt(0)
	v_add_co_u32_e32 v10, vcc, 1, v10
	v_addc_co_u32_e32 v11, vcc, 0, v11, vcc
	ds_write_b64 v0, v[10:11] offset:584
.LBB4_369:                              ;   in Loop: Header=BB4_230 Depth=1
	s_or_b64 exec, exec, s[18:19]
	v_add_co_u32_e32 v8, vcc, 1, v8
	v_addc_co_u32_e32 v9, vcc, 0, v9, vcc
	s_or_b64 exec, exec, s[36:37]
	s_and_saveexec_b64 s[18:19], s[10:11]
	s_cbranch_execz .LBB4_388
.LBB4_370:                              ;   in Loop: Header=BB4_230 Depth=1
	s_and_saveexec_b64 vcc, s[28:29]
	s_xor_b64 s[36:37], exec, vcc
	s_cbranch_execz .LBB4_385
; %bb.371:                              ;   in Loop: Header=BB4_230 Depth=1
	s_and_saveexec_b64 s[40:41], s[12:13]
	s_cbranch_execz .LBB4_384
; %bb.372:                              ;   in Loop: Header=BB4_230 Depth=1
	s_mov_b64 s[44:45], exec
	v_mbcnt_lo_u32_b32 v0, s44, 0
	v_mbcnt_hi_u32_b32 v0, s45, v0
	v_cmp_eq_u32_e32 vcc, 0, v0
	s_waitcnt vmcnt(0) lgkmcnt(0)
	buffer_wbinvl1_vol
	s_and_saveexec_b64 s[42:43], vcc
	s_cbranch_execz .LBB4_374
; %bb.373:                              ;   in Loop: Header=BB4_230 Depth=1
	s_bcnt1_i32_b64 vcc_lo, s[44:45]
	v_mov_b32_e32 v32, vcc_lo
	ds_add_u64 v0, v[32:33]
	s_trap 2
.LBB4_374:                              ;   in Loop: Header=BB4_230 Depth=1
	s_or_b64 exec, exec, s[42:43]
	s_trap 2
	ds_read_b64 v[10:11], v0
	v_add_co_u32_e32 v36, vcc, v36, v48
	v_addc_co_u32_e32 v37, vcc, 0, v37, vcc
	s_waitcnt lgkmcnt(0)
	v_cmp_lt_u64_e32 vcc, v[10:11], v[36:37]
	s_and_saveexec_b64 s[42:43], vcc
	s_cbranch_execz .LBB4_383
; %bb.375:                              ;   in Loop: Header=BB4_230 Depth=1
	s_mov_b32 s54, 0
	s_mov_b64 s[44:45], 0
                                        ; implicit-def: $sgpr46_sgpr47
                                        ; implicit-def: $sgpr48_sgpr49
	s_branch .LBB4_377
.LBB4_376:                              ;   in Loop: Header=BB4_377 Depth=2
	s_or_b64 exec, exec, s[52:53]
	s_and_b64 vcc, exec, vcc
	s_or_b64 s[44:45], vcc, s[44:45]
	s_andn2_b64 vcc, s[46:47], exec
	s_and_b64 s[46:47], s[48:49], exec
	s_or_b64 s[46:47], vcc, s[46:47]
	s_andn2_b64 exec, exec, s[44:45]
	s_cbranch_execz .LBB4_381
.LBB4_377:                              ;   Parent Loop BB4_230 Depth=1
                                        ; =>  This Inner Loop Header: Depth=2
	s_add_i32 s54, s54, 1
	s_cmpk_lg_i32 s54, 0x2710
	s_cselect_b64 s[50:51], -1, 0
	s_and_b64 vcc, exec, s[50:51]
                                        ; implicit-def: $sgpr52_sgpr53
	s_cbranch_vccnz .LBB4_379
; %bb.378:                              ;   in Loop: Header=BB4_377 Depth=2
	s_trap 2
	ds_read_b64 v[10:11], v0
	s_andn2_b64 s[50:51], s[50:51], exec
	s_mov_b32 s54, 0
	s_mov_b64 s[52:53], -1
	s_waitcnt lgkmcnt(0)
	flat_load_dword v0, v[10:11] glc
	s_waitcnt vmcnt(0) lgkmcnt(0)
	buffer_invl2
	buffer_wbinvl1_vol
	v_cmp_eq_u32_e32 vcc, 0, v0
	s_and_b64 vcc, vcc, exec
	s_or_b64 s[50:51], s[50:51], vcc
.LBB4_379:                              ;   in Loop: Header=BB4_377 Depth=2
	s_andn2_b64 s[48:49], s[48:49], exec
	s_and_b64 s[52:53], s[52:53], exec
	s_mov_b64 vcc, -1
	s_or_b64 s[48:49], s[48:49], s[52:53]
	s_and_saveexec_b64 s[52:53], s[50:51]
	s_cbranch_execz .LBB4_376
; %bb.380:                              ;   in Loop: Header=BB4_377 Depth=2
	s_sleep 1
	s_trap 2
	ds_read_b64 v[10:11], v0
	s_andn2_b64 s[48:49], s[48:49], exec
	s_waitcnt lgkmcnt(0)
	v_cmp_ge_u64_e32 vcc, v[10:11], v[36:37]
	s_orn2_b64 vcc, vcc, exec
	s_branch .LBB4_376
.LBB4_381:                              ;   in Loop: Header=BB4_230 Depth=1
	s_or_b64 exec, exec, s[44:45]
	s_and_saveexec_b64 vcc, s[46:47]
	s_xor_b64 vcc, exec, vcc
	s_cbranch_execz .LBB4_383
; %bb.382:                              ;   in Loop: Header=BB4_230 Depth=1
	v_mov_b32_e32 v0, 1
	ds_write_b32 v0, v0
	s_trap 2
.LBB4_383:                              ;   in Loop: Header=BB4_230 Depth=1
	s_or_b64 exec, exec, s[42:43]
	;;#ASMSTART
	s_wakeup
	;;#ASMEND
.LBB4_384:                              ;   in Loop: Header=BB4_230 Depth=1
	s_or_b64 exec, exec, s[40:41]
.LBB4_385:                              ;   in Loop: Header=BB4_230 Depth=1
	s_andn2_saveexec_b64 vcc, s[36:37]
	s_cbranch_execz .LBB4_387
; %bb.386:                              ;   in Loop: Header=BB4_230 Depth=1
	s_waitcnt vmcnt(0) lgkmcnt(0)
	buffer_wbinvl1_vol
	s_barrier
.LBB4_387:                              ;   in Loop: Header=BB4_230 Depth=1
	s_or_b64 exec, exec, vcc
.LBB4_388:                              ;   in Loop: Header=BB4_230 Depth=1
	s_or_b64 exec, exec, s[18:19]
	s_trap 2
	ds_read_b32 v0, v0
	v_sub_u32_e32 v1, v42, v14
	v_min_i32_e32 v1, v53, v1
	v_cmp_lt_i32_e32 vcc, 0, v1
	s_waitcnt lgkmcnt(0)
	v_readfirstlane_b32 s18, v0
	s_cmp_eq_u32 s18, 0
	s_cselect_b64 s[18:19], -1, 0
	v_and_b32_e32 v0, 16, v2
	s_and_b64 s[18:19], vcc, s[18:19]
	v_cmp_ne_u32_e32 vcc, 0, v0
	s_and_b64 vcc, vcc, s[18:19]
	s_and_saveexec_b64 s[18:19], vcc
	s_cbranch_execz .LBB4_390
; %bb.389:                              ;   in Loop: Header=BB4_230 Depth=1
	s_waitcnt vmcnt(0)
	buffer_wbinvl1_vol
.LBB4_390:                              ;   in Loop: Header=BB4_230 Depth=1
	s_or_b64 exec, exec, s[18:19]
	v_and_b32_e32 v0, 32, v2
	v_cmp_ne_u32_e32 vcc, 0, v0
	s_and_saveexec_b64 s[18:19], vcc
	s_cbranch_execz .LBB4_228
; %bb.391:                              ;   in Loop: Header=BB4_230 Depth=1
	v_add_co_u32_e32 v8, vcc, 1, v8
	v_addc_co_u32_e32 v9, vcc, 0, v9, vcc
	flat_store_dwordx2 v[28:29], v[8:9]
	s_branch .LBB4_228
.LBB4_392:
	s_or_b64 exec, exec, s[30:31]
	v_accvgpr_read_b32 v27, a7
	v_accvgpr_read_b32 v1, a0
	;; [unrolled: 1-line block ×5, first 2 shown]
.LBB4_393:
	s_or_b64 exec, exec, s[22:23]
.LBB4_394:
	s_or_b64 exec, exec, s[20:21]
                                        ; implicit-def: $vgpr50_vgpr51
                                        ; implicit-def: $vgpr4_vgpr5
                                        ; implicit-def: $vgpr46_vgpr47
                                        ; implicit-def: $vgpr56
                                        ; implicit-def: $vgpr34_vgpr35
                                        ; implicit-def: $vgpr58_vgpr59
                                        ; implicit-def: $vgpr28_vgpr29
                                        ; implicit-def: $vgpr61
                                        ; implicit-def: $vgpr15
                                        ; implicit-def: $vgpr38_vgpr39
.LBB4_395:
	s_andn2_saveexec_b64 s[22:23], s[26:27]
	s_cbranch_execz .LBB4_568
; %bb.396:
	s_mov_b64 s[28:29], 0
	v_cmp_ne_u64_e32 vcc, 0, v[4:5]
	v_pk_mov_b32 v[36:37], 0, 0
	s_and_saveexec_b64 s[26:27], vcc
	s_cbranch_execz .LBB4_567
; %bb.397:
	v_and_b32_e32 v3, 63, v31
	v_cmp_eq_u32_e64 s[12:13], 0, v3
	v_ashrrev_i32_e32 v3, 31, v61
	v_lshrrev_b32_e32 v3, 26, v3
	s_waitcnt vmcnt(0)
	v_add_u32_e32 v11, v61, v3
	s_lshr_b32 s6, s62, 27
	v_and_b32_e32 v3, 0xffffffc0, v11
	v_ashrrev_i32_e32 v60, 6, v11
	s_add_i32 s62, s62, s6
	v_cmp_ge_i32_e64 s[6:7], v61, v1
	v_cmp_eq_u32_e32 vcc, 64, v1
	v_cmp_ne_u32_e64 s[10:11], 64, v1
	v_cmp_ne_u32_sdwa s[30:31], v25, v1 src0_sel:WORD_0 src1_sel:DWORD
	v_mov_b32_e32 v0, v1
	v_lshrrev_b32_e32 v10, 6, v1
	v_sub_u32_e32 v1, v61, v3
	v_lshlrev_b32_e32 v11, 11, v60
	v_lshl_add_u32 v14, v1, 4, v11
	v_mov_b32_e32 v11, 0xfffff800
	v_lshl_add_u32 v11, v10, 11, v11
	s_movk_i32 s18, 0x800
	v_mov_b32_e32 v32, v31
	v_ashrrev_i32_e32 v12, 31, v11
	v_add_co_u32_e64 v31, s[18:19], s18, v11
	v_addc_co_u32_e64 v48, s[18:19], 0, v12, s[18:19]
	v_lshlrev_b32_e32 v49, 10, v10
	v_add_u32_e32 v11, 0xfffffc00, v49
	s_movk_i32 s18, 0x400
	v_ashrrev_i32_e32 v12, 31, v11
	v_add_co_u32_e64 v52, s[18:19], s18, v11
	v_addc_co_u32_e64 v53, s[18:19], 0, v12, s[18:19]
	v_lshlrev_b32_e32 v54, 7, v10
	v_add_u32_e32 v11, 0xffffff80, v54
	s_movk_i32 s18, 0x80
	v_ashrrev_i32_e32 v12, 31, v11
	v_add_co_u32_e64 v55, s[18:19], s18, v11
	v_accvgpr_write_b32 a0, v26
	v_cmp_lt_i32_e64 s[16:17], v1, v15
	v_ashrrev_i32_e32 v15, 31, v14
	v_accvgpr_write_b32 a12, v14
	v_addc_co_u32_e64 v40, s[18:19], 0, v12, s[18:19]
	v_pk_mov_b32 v[16:17], 0, 0
	s_waitcnt lgkmcnt(0)
	v_accvgpr_write_b32 a6, v58
	v_accvgpr_write_b32 a8, v46
	;; [unrolled: 1-line block ×3, first 2 shown]
	s_ashr_i32 s58, s62, 5
	v_mov_b32_e32 v33, v25
	v_mov_b32_e32 v13, 0
	v_cmp_gt_i32_e64 s[14:15], 1, v1
	v_accvgpr_write_b32 a3, v1
	v_accvgpr_write_b32 a13, v15
	v_cmp_ne_u64_e64 s[18:19], 0, v[46:47]
	s_movk_i32 s59, 0x270e
	v_mov_b32_e32 v41, 1
	s_xor_b64 s[34:35], vcc, -1
	v_lshlrev_b64 v[18:19], 1, v[50:51]
	v_pk_mov_b32 v[36:37], v[16:17], v[16:17] op_sel:[0,1]
	v_accvgpr_write_b32 a2, v56
	v_accvgpr_write_b32 a7, v59
	v_accvgpr_write_b32 a9, v47
	s_trap 2
	s_branch .LBB4_401
.LBB4_398:                              ;   in Loop: Header=BB4_401 Depth=1
	s_or_b64 exec, exec, vcc
	v_add_co_u32_e32 v8, vcc, 1, v8
	v_addc_co_u32_e32 v9, vcc, 0, v9, vcc
	flat_store_dwordx2 v[28:29], v[8:9]
.LBB4_399:                              ;   in Loop: Header=BB4_401 Depth=1
	s_or_b64 exec, exec, s[20:21]
.LBB4_400:                              ;   in Loop: Header=BB4_401 Depth=1
	s_or_b64 exec, exec, s[38:39]
	v_add_co_u32_e32 v16, vcc, v16, v38
	v_addc_co_u32_e32 v17, vcc, 0, v17, vcc
	v_cmp_ge_u64_e32 vcc, v[16:17], v[4:5]
	s_or_b64 s[28:29], vcc, s[28:29]
	s_andn2_b64 exec, exec, s[28:29]
	s_cbranch_execz .LBB4_566
.LBB4_401:                              ; =>This Loop Header: Depth=1
                                        ;     Child Loop BB4_410 Depth 2
                                        ;     Child Loop BB4_434 Depth 2
	;; [unrolled: 1-line block ×10, first 2 shown]
	v_sub_co_u32_e32 v20, vcc, v4, v16
	v_subb_co_u32_e32 v21, vcc, v5, v17, vcc
	v_cmp_lt_u64_e32 vcc, v[38:39], v[20:21]
	v_cndmask_b32_e64 v21, v21, 0, vcc
	v_cndmask_b32_e32 v20, v20, v38, vcc
	v_add_u32_e32 v11, 15, v20
	v_cmp_eq_u64_e32 vcc, 0, v[20:21]
	v_and_b32_e32 v11, 0x3ffffff0, v11
	s_or_b64 s[36:37], s[6:7], vcc
	v_max_i32_e32 v42, s58, v11
	s_xor_b64 s[20:21], s[36:37], -1
	v_mov_b32_e32 v11, 0
	s_and_saveexec_b64 s[38:39], s[20:21]
	s_cbranch_execz .LBB4_519
; %bb.402:                              ;   in Loop: Header=BB4_401 Depth=1
	s_and_saveexec_b64 s[20:21], s[4:5]
	s_cbranch_execz .LBB4_404
; %bb.403:                              ;   in Loop: Header=BB4_401 Depth=1
	s_trap 2
	ds_read_b64 v[22:23], v0
	s_waitcnt lgkmcnt(0)
	v_add_co_u32_e32 v11, vcc, v22, v18
	v_addc_co_u32_e32 v12, vcc, v23, v19, vcc
	v_lshlrev_b64 v[22:23], 1, v[16:17]
	v_add_co_u32_e32 v22, vcc, v11, v22
	v_addc_co_u32_e32 v23, vcc, v12, v23, vcc
	v_mov_b32_e32 v12, v13
	ds_write_b64 v0, v[22:23]
	ds_write_b64 v0, v[12:13]
.LBB4_404:                              ;   in Loop: Header=BB4_401 Depth=1
	s_or_b64 exec, exec, s[20:21]
	v_and_b32_e32 v11, 8, v2
	v_cmp_ne_u32_e32 vcc, 0, v11
	s_mov_b64 s[40:41], -1
	s_and_saveexec_b64 s[20:21], vcc
	s_cbranch_execz .LBB4_416
; %bb.405:                              ;   in Loop: Header=BB4_401 Depth=1
	v_add_co_u32_e32 v24, vcc, 8, v34
	v_addc_co_u32_e32 v25, vcc, 0, v35, vcc
	v_add_co_u32_e32 v22, vcc, 1, v8
	v_addc_co_u32_e32 v23, vcc, 0, v9, vcc
	v_cmp_lt_u64_e32 vcc, v[24:25], v[22:23]
	v_mov_b32_e32 v11, 1
	s_and_saveexec_b64 s[40:41], vcc
	s_cbranch_execz .LBB4_415
; %bb.406:                              ;   in Loop: Header=BB4_401 Depth=1
	s_mov_b64 s[42:43], 0
	v_mov_b32_e32 v11, 0
                                        ; implicit-def: $sgpr44_sgpr45
	s_branch .LBB4_410
.LBB4_407:                              ;   in Loop: Header=BB4_410 Depth=2
	s_or_b64 exec, exec, s[52:53]
	v_mov_b32_e32 v12, 0
	s_orn2_b64 s[50:51], s[50:51], exec
.LBB4_408:                              ;   in Loop: Header=BB4_410 Depth=2
	s_or_b64 exec, exec, s[48:49]
	s_andn2_b64 vcc, s[44:45], exec
	s_and_b64 s[44:45], s[50:51], exec
	s_or_b64 s[44:45], vcc, s[44:45]
	v_mov_b32_e32 v11, v12
.LBB4_409:                              ;   in Loop: Header=BB4_410 Depth=2
	s_or_b64 exec, exec, s[46:47]
	s_waitcnt vmcnt(0) lgkmcnt(0)
	v_add_co_u32_e32 v24, vcc, 8, v34
	v_addc_co_u32_e32 v25, vcc, 0, v35, vcc
	v_cmp_ge_u64_e32 vcc, v[24:25], v[22:23]
	s_xor_b64 s[46:47], s[44:45], -1
	s_or_b64 vcc, s[46:47], vcc
	s_and_b64 vcc, exec, vcc
	s_or_b64 s[42:43], vcc, s[42:43]
	s_andn2_b64 exec, exec, s[42:43]
	s_cbranch_execz .LBB4_414
.LBB4_410:                              ;   Parent Loop BB4_401 Depth=1
                                        ; =>  This Inner Loop Header: Depth=2
	s_sleep 1
	flat_load_dwordx2 v[34:35], v[28:29] glc
	v_and_b32_e32 v12, 64, v2
	v_cmp_eq_u32_e32 vcc, 0, v12
	s_andn2_b64 s[44:45], s[44:45], exec
	s_and_saveexec_b64 s[46:47], vcc
	s_cbranch_execz .LBB4_409
; %bb.411:                              ;   in Loop: Header=BB4_410 Depth=2
	v_add_u32_e32 v12, 1, v11
	v_cmp_lt_i32_e32 vcc, s59, v11
	s_mov_b64 s[50:51], -1
	s_and_saveexec_b64 s[48:49], vcc
	s_cbranch_execz .LBB4_408
; %bb.412:                              ;   in Loop: Header=BB4_410 Depth=2
	s_trap 2
	ds_read_b64 v[24:25], v0
	s_waitcnt vmcnt(0) lgkmcnt(0)
	flat_load_dword v11, v[24:25] glc
	s_waitcnt vmcnt(0) lgkmcnt(0)
	buffer_invl2
	buffer_wbinvl1_vol
	v_cmp_ne_u32_e32 vcc, 0, v11
	s_and_saveexec_b64 s[52:53], vcc
	s_cbranch_execz .LBB4_407
; %bb.413:                              ;   in Loop: Header=BB4_410 Depth=2
	v_or_b32_e32 v2, 64, v2
	s_xor_b64 s[50:51], exec, -1
	ds_write_b32 v0, v11
	s_trap 2
	s_branch .LBB4_407
.LBB4_414:                              ;   in Loop: Header=BB4_401 Depth=1
	s_or_b64 exec, exec, s[42:43]
	v_and_b32_e32 v11, 8, v2
.LBB4_415:                              ;   in Loop: Header=BB4_401 Depth=1
	s_or_b64 exec, exec, s[40:41]
	v_cmp_eq_u32_e32 vcc, 0, v11
	s_orn2_b64 s[40:41], vcc, exec
	;;#ASMSTART
	s_wakeup
	;;#ASMEND
.LBB4_416:                              ;   in Loop: Header=BB4_401 Depth=1
	s_or_b64 exec, exec, s[20:21]
	s_xor_b64 s[20:21], s[40:41], -1
	v_min_u32_e32 v42, v42, v20
	s_and_saveexec_b64 s[40:41], s[20:21]
	s_cbranch_execz .LBB4_426
; %bb.417:                              ;   in Loop: Header=BB4_401 Depth=1
	v_and_b32_e32 v11, 0x100, v2
	v_cmp_ne_u32_e32 vcc, 0, v11
	v_and_b32_e32 v11, 7, v8
	s_mov_b64 s[20:21], -1
                                        ; implicit-def: $vgpr22_vgpr23
	s_and_saveexec_b64 s[42:43], vcc
	s_cbranch_execz .LBB4_421
; %bb.418:                              ;   in Loop: Header=BB4_401 Depth=1
	v_mad_u64_u32 v[24:25], s[20:21], v11, 24, v[6:7]
	flat_load_dword v21, v[24:25]
	v_lshlrev_b32_e32 v12, 1, v42
	flat_store_dwordx2 v[24:25], v[12:13] offset:8
                                        ; implicit-def: $vgpr22_vgpr23
	s_waitcnt vmcnt(0) lgkmcnt(0)
	v_cmp_ne_u32_e32 vcc, 1, v21
	v_cmp_eq_u32_e64 s[20:21], 1, v21
	s_and_saveexec_b64 s[44:45], s[20:21]
	s_cbranch_execz .LBB4_420
; %bb.419:                              ;   in Loop: Header=BB4_401 Depth=1
	flat_load_dword v22, v[24:25] offset:4 glc
	s_waitcnt vmcnt(0) lgkmcnt(0)
	v_ashrrev_i32_e32 v23, 31, v22
	v_lshrrev_b64 v[22:23], 1, v[22:23]
.LBB4_420:                              ;   in Loop: Header=BB4_401 Depth=1
	s_or_b64 exec, exec, s[44:45]
	s_orn2_b64 s[20:21], vcc, exec
.LBB4_421:                              ;   in Loop: Header=BB4_401 Depth=1
	s_or_b64 exec, exec, s[42:43]
	s_and_saveexec_b64 vcc, s[20:21]
; %bb.422:                              ;   in Loop: Header=BB4_401 Depth=1
	v_mad_i64_i32 v[22:23], s[20:21], v11, v56, 0
; %bb.423:                              ;   in Loop: Header=BB4_401 Depth=1
	s_or_b64 exec, exec, vcc
	v_lshlrev_b64 v[22:23], 1, v[22:23]
	v_add_co_u32_e32 v22, vcc, v58, v22
	v_addc_co_u32_e32 v23, vcc, v59, v23, vcc
	v_and_b32_e32 v11, 0x2000, v2
	v_cmp_ne_u32_e32 vcc, 0, v11
	ds_write_b64 v0, v[22:23] offset:784
	s_and_saveexec_b64 s[20:21], vcc
	s_cbranch_execz .LBB4_425
; %bb.424:                              ;   in Loop: Header=BB4_401 Depth=1
	ds_read_b64 v[22:23], v0 offset:584
	s_waitcnt lgkmcnt(0)
	v_add_co_u32_e32 v22, vcc, 1, v22
	v_addc_co_u32_e32 v23, vcc, 0, v23, vcc
	ds_write_b64 v0, v[22:23] offset:584
.LBB4_425:                              ;   in Loop: Header=BB4_401 Depth=1
	s_or_b64 exec, exec, s[20:21]
	v_add_co_u32_e32 v8, vcc, 1, v8
	v_addc_co_u32_e32 v9, vcc, 0, v9, vcc
.LBB4_426:                              ;   in Loop: Header=BB4_401 Depth=1
	s_or_b64 exec, exec, s[40:41]
	s_and_saveexec_b64 s[20:21], s[10:11]
	s_cbranch_execz .LBB4_445
; %bb.427:                              ;   in Loop: Header=BB4_401 Depth=1
	s_and_saveexec_b64 vcc, s[30:31]
	s_xor_b64 s[40:41], exec, vcc
	s_cbranch_execz .LBB4_442
; %bb.428:                              ;   in Loop: Header=BB4_401 Depth=1
	s_and_saveexec_b64 s[42:43], s[12:13]
	s_cbranch_execz .LBB4_441
; %bb.429:                              ;   in Loop: Header=BB4_401 Depth=1
	s_mov_b64 s[46:47], exec
	v_mbcnt_lo_u32_b32 v11, s46, 0
	v_mbcnt_hi_u32_b32 v11, s47, v11
	v_cmp_eq_u32_e32 vcc, 0, v11
	s_waitcnt vmcnt(0) lgkmcnt(0)
	buffer_wbinvl1_vol
	s_and_saveexec_b64 s[44:45], vcc
	s_cbranch_execz .LBB4_431
; %bb.430:                              ;   in Loop: Header=BB4_401 Depth=1
	s_bcnt1_i32_b64 vcc_lo, s[46:47]
	v_mov_b32_e32 v12, vcc_lo
	ds_add_u64 v0, v[12:13]
	s_trap 2
.LBB4_431:                              ;   in Loop: Header=BB4_401 Depth=1
	s_or_b64 exec, exec, s[44:45]
	s_trap 2
	ds_read_b64 v[22:23], v0
	v_add_co_u32_e32 v36, vcc, v36, v10
	v_addc_co_u32_e32 v37, vcc, 0, v37, vcc
	s_waitcnt lgkmcnt(0)
	v_cmp_lt_u64_e32 vcc, v[22:23], v[36:37]
	s_and_saveexec_b64 s[44:45], vcc
	s_cbranch_execz .LBB4_440
; %bb.432:                              ;   in Loop: Header=BB4_401 Depth=1
	s_mov_b32 s56, 0
	s_mov_b64 s[46:47], 0
                                        ; implicit-def: $sgpr48_sgpr49
                                        ; implicit-def: $sgpr50_sgpr51
	s_branch .LBB4_434
.LBB4_433:                              ;   in Loop: Header=BB4_434 Depth=2
	s_or_b64 exec, exec, s[54:55]
	s_and_b64 vcc, exec, vcc
	s_or_b64 s[46:47], vcc, s[46:47]
	s_andn2_b64 vcc, s[48:49], exec
	s_and_b64 s[48:49], s[50:51], exec
	s_or_b64 s[48:49], vcc, s[48:49]
	s_andn2_b64 exec, exec, s[46:47]
	s_cbranch_execz .LBB4_438
.LBB4_434:                              ;   Parent Loop BB4_401 Depth=1
                                        ; =>  This Inner Loop Header: Depth=2
	s_add_i32 s56, s56, 1
	s_cmpk_lg_i32 s56, 0x2710
	s_cselect_b64 s[52:53], -1, 0
	s_and_b64 vcc, exec, s[52:53]
                                        ; implicit-def: $sgpr54_sgpr55
	s_cbranch_vccnz .LBB4_436
; %bb.435:                              ;   in Loop: Header=BB4_434 Depth=2
	s_trap 2
	ds_read_b64 v[22:23], v0
	s_andn2_b64 s[52:53], s[52:53], exec
	s_mov_b32 s56, 0
	s_mov_b64 s[54:55], -1
	s_waitcnt lgkmcnt(0)
	flat_load_dword v11, v[22:23] glc
	s_waitcnt vmcnt(0) lgkmcnt(0)
	buffer_invl2
	buffer_wbinvl1_vol
	v_cmp_eq_u32_e32 vcc, 0, v11
	s_and_b64 vcc, vcc, exec
	s_or_b64 s[52:53], s[52:53], vcc
.LBB4_436:                              ;   in Loop: Header=BB4_434 Depth=2
	s_andn2_b64 s[50:51], s[50:51], exec
	s_and_b64 s[54:55], s[54:55], exec
	s_mov_b64 vcc, -1
	s_or_b64 s[50:51], s[50:51], s[54:55]
	s_and_saveexec_b64 s[54:55], s[52:53]
	s_cbranch_execz .LBB4_433
; %bb.437:                              ;   in Loop: Header=BB4_434 Depth=2
	s_sleep 1
	s_trap 2
	ds_read_b64 v[22:23], v0
	s_andn2_b64 s[50:51], s[50:51], exec
	s_waitcnt lgkmcnt(0)
	v_cmp_ge_u64_e32 vcc, v[22:23], v[36:37]
	s_orn2_b64 vcc, vcc, exec
	s_branch .LBB4_433
.LBB4_438:                              ;   in Loop: Header=BB4_401 Depth=1
	s_or_b64 exec, exec, s[46:47]
	s_and_saveexec_b64 vcc, s[48:49]
	s_xor_b64 vcc, exec, vcc
	s_cbranch_execz .LBB4_440
; %bb.439:                              ;   in Loop: Header=BB4_401 Depth=1
	ds_write_b32 v0, v41
	s_trap 2
.LBB4_440:                              ;   in Loop: Header=BB4_401 Depth=1
	s_or_b64 exec, exec, s[44:45]
	;;#ASMSTART
	s_wakeup
	;;#ASMEND
.LBB4_441:                              ;   in Loop: Header=BB4_401 Depth=1
	s_or_b64 exec, exec, s[42:43]
.LBB4_442:                              ;   in Loop: Header=BB4_401 Depth=1
	s_andn2_saveexec_b64 vcc, s[40:41]
	s_cbranch_execz .LBB4_444
; %bb.443:                              ;   in Loop: Header=BB4_401 Depth=1
	s_waitcnt vmcnt(0) lgkmcnt(0)
	buffer_wbinvl1_vol
	s_barrier
.LBB4_444:                              ;   in Loop: Header=BB4_401 Depth=1
	s_or_b64 exec, exec, vcc
.LBB4_445:                              ;   in Loop: Header=BB4_401 Depth=1
	s_or_b64 exec, exec, s[20:21]
	s_trap 2
	ds_read_b32 v11, v0
	v_and_b32_e32 v12, 0x4000, v2
	v_cmp_ne_u32_e32 vcc, 0, v12
	s_and_b64 vcc, s[34:35], vcc
	s_and_saveexec_b64 s[20:21], vcc
	s_cbranch_execz .LBB4_464
; %bb.446:                              ;   in Loop: Header=BB4_401 Depth=1
	s_and_saveexec_b64 vcc, s[30:31]
	s_xor_b64 s[40:41], exec, vcc
	s_cbranch_execz .LBB4_461
; %bb.447:                              ;   in Loop: Header=BB4_401 Depth=1
	s_and_saveexec_b64 s[42:43], s[12:13]
	s_cbranch_execz .LBB4_460
; %bb.448:                              ;   in Loop: Header=BB4_401 Depth=1
	s_mov_b64 s[46:47], exec
	v_mbcnt_lo_u32_b32 v12, s46, 0
	v_mbcnt_hi_u32_b32 v12, s47, v12
	v_cmp_eq_u32_e32 vcc, 0, v12
	s_waitcnt vmcnt(0) lgkmcnt(0)
	buffer_wbinvl1_vol
	s_and_saveexec_b64 s[44:45], vcc
	s_cbranch_execz .LBB4_450
; %bb.449:                              ;   in Loop: Header=BB4_401 Depth=1
	s_bcnt1_i32_b64 vcc_lo, s[46:47]
	v_mov_b32_e32 v12, vcc_lo
	ds_add_u64 v0, v[12:13]
	s_trap 2
.LBB4_450:                              ;   in Loop: Header=BB4_401 Depth=1
	s_or_b64 exec, exec, s[44:45]
	s_trap 2
	ds_read_b64 v[22:23], v0
	v_add_co_u32_e32 v36, vcc, v36, v10
	v_addc_co_u32_e32 v37, vcc, 0, v37, vcc
	s_waitcnt lgkmcnt(0)
	v_cmp_lt_u64_e32 vcc, v[22:23], v[36:37]
	s_and_saveexec_b64 s[44:45], vcc
	s_cbranch_execz .LBB4_459
; %bb.451:                              ;   in Loop: Header=BB4_401 Depth=1
	s_mov_b32 s56, 0
	s_mov_b64 s[46:47], 0
                                        ; implicit-def: $sgpr48_sgpr49
                                        ; implicit-def: $sgpr50_sgpr51
	s_branch .LBB4_453
.LBB4_452:                              ;   in Loop: Header=BB4_453 Depth=2
	s_or_b64 exec, exec, s[54:55]
	s_and_b64 vcc, exec, vcc
	s_or_b64 s[46:47], vcc, s[46:47]
	s_andn2_b64 vcc, s[48:49], exec
	s_and_b64 s[48:49], s[50:51], exec
	s_or_b64 s[48:49], vcc, s[48:49]
	s_andn2_b64 exec, exec, s[46:47]
	s_cbranch_execz .LBB4_457
.LBB4_453:                              ;   Parent Loop BB4_401 Depth=1
                                        ; =>  This Inner Loop Header: Depth=2
	s_add_i32 s56, s56, 1
	s_cmpk_lg_i32 s56, 0x2710
	s_cselect_b64 s[52:53], -1, 0
	s_and_b64 vcc, exec, s[52:53]
                                        ; implicit-def: $sgpr54_sgpr55
	s_cbranch_vccnz .LBB4_455
; %bb.454:                              ;   in Loop: Header=BB4_453 Depth=2
	s_trap 2
	ds_read_b64 v[22:23], v0
	s_andn2_b64 s[52:53], s[52:53], exec
	s_mov_b32 s56, 0
	s_mov_b64 s[54:55], -1
	s_waitcnt lgkmcnt(0)
	flat_load_dword v12, v[22:23] glc
	s_waitcnt vmcnt(0) lgkmcnt(0)
	buffer_invl2
	buffer_wbinvl1_vol
	v_cmp_eq_u32_e32 vcc, 0, v12
	s_and_b64 vcc, vcc, exec
	s_or_b64 s[52:53], s[52:53], vcc
.LBB4_455:                              ;   in Loop: Header=BB4_453 Depth=2
	s_andn2_b64 s[50:51], s[50:51], exec
	s_and_b64 s[54:55], s[54:55], exec
	s_mov_b64 vcc, -1
	s_or_b64 s[50:51], s[50:51], s[54:55]
	s_and_saveexec_b64 s[54:55], s[52:53]
	s_cbranch_execz .LBB4_452
; %bb.456:                              ;   in Loop: Header=BB4_453 Depth=2
	s_sleep 1
	s_trap 2
	ds_read_b64 v[22:23], v0
	s_andn2_b64 s[50:51], s[50:51], exec
	s_waitcnt lgkmcnt(0)
	v_cmp_ge_u64_e32 vcc, v[22:23], v[36:37]
	s_orn2_b64 vcc, vcc, exec
	s_branch .LBB4_452
.LBB4_457:                              ;   in Loop: Header=BB4_401 Depth=1
	s_or_b64 exec, exec, s[46:47]
	s_and_saveexec_b64 vcc, s[48:49]
	s_xor_b64 vcc, exec, vcc
	s_cbranch_execz .LBB4_459
; %bb.458:                              ;   in Loop: Header=BB4_401 Depth=1
	ds_write_b32 v0, v41
	s_trap 2
.LBB4_459:                              ;   in Loop: Header=BB4_401 Depth=1
	s_or_b64 exec, exec, s[44:45]
	;;#ASMSTART
	s_wakeup
	;;#ASMEND
.LBB4_460:                              ;   in Loop: Header=BB4_401 Depth=1
	s_or_b64 exec, exec, s[42:43]
.LBB4_461:                              ;   in Loop: Header=BB4_401 Depth=1
	s_andn2_saveexec_b64 vcc, s[40:41]
	s_cbranch_execz .LBB4_463
; %bb.462:                              ;   in Loop: Header=BB4_401 Depth=1
	s_waitcnt vmcnt(0) lgkmcnt(0)
	buffer_wbinvl1_vol
	s_barrier
.LBB4_463:                              ;   in Loop: Header=BB4_401 Depth=1
	s_or_b64 exec, exec, vcc
.LBB4_464:                              ;   in Loop: Header=BB4_401 Depth=1
	s_or_b64 exec, exec, s[20:21]
	s_trap 2
	ds_read_b64 v[22:23], v0
	s_waitcnt lgkmcnt(0)
	v_readfirstlane_b32 s20, v22
	v_readfirstlane_b32 s21, v23
	s_cmp_eq_u64 s[20:21], 0
	s_cselect_b64 s[20:21], -1, 0
	s_or_b64 vcc, s[20:21], s[20:21]
	s_mov_b64 s[20:21], 0
	s_and_b64 vcc, exec, vcc
	s_cbranch_vccnz .LBB4_493
; %bb.465:                              ;   in Loop: Header=BB4_401 Depth=1
	s_mov_b64 s[20:21], -1
	s_and_saveexec_b64 s[40:41], s[14:15]
	s_cbranch_execz .LBB4_467
; %bb.466:                              ;   in Loop: Header=BB4_401 Depth=1
	ds_read_b32 v12, v0 offset:720
	s_waitcnt lgkmcnt(0)
	v_and_b32_e32 v12, 15, v12
	v_cmp_eq_u32_e32 vcc, 0, v12
	s_orn2_b64 s[20:21], vcc, exec
.LBB4_467:                              ;   in Loop: Header=BB4_401 Depth=1
	s_or_b64 exec, exec, s[40:41]
	s_and_saveexec_b64 s[40:41], s[16:17]
	s_cbranch_execz .LBB4_469
; %bb.468:                              ;   in Loop: Header=BB4_401 Depth=1
	ds_read_b32 v12, v0 offset:784
	s_waitcnt lgkmcnt(0)
	v_and_b32_e32 v12, 15, v12
	v_cmp_eq_u32_e32 vcc, 0, v12
	s_and_b64 vcc, s[20:21], vcc
	s_andn2_b64 s[20:21], s[20:21], exec
	s_and_b64 vcc, vcc, exec
	s_or_b64 s[20:21], s[20:21], vcc
.LBB4_469:                              ;   in Loop: Header=BB4_401 Depth=1
	s_or_b64 exec, exec, s[40:41]
	v_cmp_eq_u32_e32 vcc, 0, v11
	s_xor_b64 s[20:21], s[20:21], -1
	v_cndmask_b32_e32 v21, 0, v42, vcc
	v_cndmask_b32_e64 v11, 0, 1, s[20:21]
	v_mov_b32_e32 v44, 0
	v_lshlrev_b32_e32 v43, 1, v21
	s_mov_b64 s[42:43], -1
	;;#ASMSTART
	;;#ASMEND
	v_cmp_ne_u32_e32 vcc, 0, v11
	s_cbranch_vccz .LBB4_471
; %bb.470:                              ;   in Loop: Header=BB4_401 Depth=1
	v_mov_b32_e32 v26, v61
	v_mov_b32_e32 v12, v60
	s_and_saveexec_b64 s[20:21], s[42:43]
	s_cbranch_execnz .LBB4_484
	s_branch .LBB4_492
.LBB4_471:                              ;   in Loop: Header=BB4_401 Depth=1
	v_lshrrev_b32_e32 v12, 10, v21
	v_sub_u32_e32 v11, v12, v60
	v_cmp_lt_i32_e32 vcc, 0, v11
	s_and_saveexec_b64 s[20:21], vcc
	s_cbranch_execz .LBB4_475
; %bb.472:                              ;   in Loop: Header=BB4_401 Depth=1
	s_trap 2
	ds_read_b64 v[22:23], v0
	v_accvgpr_read_b32 v25, a13
	v_accvgpr_write_b32 a10, v60
	v_mov_b32_e32 v1, v61
	s_mov_b64 s[40:41], 0
	v_accvgpr_read_b32 v24, a12
.LBB4_473:                              ;   Parent Loop BB4_401 Depth=1
                                        ; =>  This Inner Loop Header: Depth=2
	s_waitcnt lgkmcnt(0)
	v_add_co_u32_e32 v50, vcc, v22, v24
	v_addc_co_u32_e32 v51, vcc, v23, v25, vcc
	global_load_dwordx4 v[44:47], v[50:51], off glc slc
	global_load_dwordx4 v[56:59], v[50:51], off offset:1024 glc slc
	v_add_co_u32_e32 v24, vcc, v24, v31
	v_sub_u32_e32 v11, v11, v10
	v_addc_co_u32_e32 v25, vcc, v25, v48, vcc
	v_cmp_gt_i32_e32 vcc, 1, v11
	s_or_b64 s[40:41], vcc, s[40:41]
	s_waitcnt vmcnt(0)
	v_mul_f16_e32 v26, v22, v44
	v_mul_f16_sdwa v27, v22, v44 dst_sel:WORD_1 dst_unused:UNUSED_PAD src0_sel:DWORD src1_sel:WORD_1
	v_mul_f16_e32 v44, v22, v45
	v_mul_f16_sdwa v45, v22, v45 dst_sel:WORD_1 dst_unused:UNUSED_PAD src0_sel:DWORD src1_sel:WORD_1
	;; [unrolled: 2-line block ×4, first 2 shown]
	s_waitcnt vmcnt(0)
	v_mul_f16_e32 v62, v22, v56
	v_mul_f16_sdwa v56, v22, v56 dst_sel:WORD_1 dst_unused:UNUSED_PAD src0_sel:DWORD src1_sel:WORD_1
	v_mul_f16_e32 v14, v22, v57
	v_mul_f16_sdwa v15, v22, v57 dst_sel:WORD_1 dst_unused:UNUSED_PAD src0_sel:DWORD src1_sel:WORD_1
	;; [unrolled: 2-line block ×4, first 2 shown]
	v_or_b32_e32 v45, v45, v44
	v_or_b32_e32 v44, v27, v26
	;; [unrolled: 1-line block ×8, first 2 shown]
	global_store_dwordx4 v[50:51], v[44:47], off glc slc
	global_store_dwordx4 v[50:51], v[56:59], off offset:1024 glc slc
	s_andn2_b64 exec, exec, s[40:41]
	s_cbranch_execnz .LBB4_473
; %bb.474:                              ;   in Loop: Header=BB4_401 Depth=1
	s_or_b64 exec, exec, s[40:41]
	v_accvgpr_read_b32 v59, a7
	v_accvgpr_read_b32 v47, a9
	v_mov_b32_e32 v61, v1
	v_accvgpr_read_b32 v56, a2
	v_accvgpr_read_b32 v58, a6
	v_accvgpr_read_b32 v46, a8
	v_accvgpr_read_b32 v60, a10
.LBB4_475:                              ;   in Loop: Header=BB4_401 Depth=1
	s_or_b64 exec, exec, s[20:21]
	v_lshlrev_b32_e32 v24, 11, v12
	v_cmp_ne_u32_e32 vcc, v43, v24
	s_mov_b64 s[42:43], 0
	v_mov_b32_e32 v44, 0
                                        ; implicit-def: $vgpr26
                                        ; implicit-def: $vgpr12
	s_and_saveexec_b64 s[40:41], vcc
	s_cbranch_execz .LBB4_483
; %bb.476:                              ;   in Loop: Header=BB4_401 Depth=1
	v_lshlrev_b32_e32 v11, 6, v11
	v_accvgpr_read_b32 v1, a3
	v_sub_u32_e32 v11, v1, v11
	v_ashrrev_i32_e32 v12, 31, v11
	v_lshrrev_b32_e32 v12, 26, v12
	v_add_u32_e32 v12, v11, v12
	v_sub_u32_e32 v3, v43, v24
	v_ashrrev_i32_e32 v14, 6, v12
	v_and_b32_e32 v12, 0xffffffc0, v12
	v_sub_u32_e32 v25, v11, v12
	v_ashrrev_i32_e32 v12, 31, v3
	v_lshrrev_b32_e32 v12, 22, v12
	v_add_u32_e32 v12, v3, v12
	v_and_b32_e32 v27, 0xfffffc00, v12
	v_lshlrev_b32_e32 v11, 4, v25
	v_sub_u32_e32 v51, v3, v27
	v_lshl_add_u32 v11, v14, 10, v11
	v_ashrrev_i32_e32 v15, 10, v12
	v_cmp_lt_i32_e32 vcc, 15, v51
	v_sub_u32_e32 v26, v3, v11
	v_addc_co_u32_e64 v3, s[20:21], 0, v15, vcc
	v_sub_u32_e32 v50, v3, v14
	v_cmp_lt_i32_e64 s[20:21], 15, v26
	s_and_saveexec_b64 s[42:43], s[20:21]
	s_cbranch_execz .LBB4_480
; %bb.477:                              ;   in Loop: Header=BB4_401 Depth=1
	s_trap 2
	ds_read_b64 v[22:23], v0
	v_add_u32_e32 v12, v11, v24
	v_ashrrev_i32_e32 v11, 31, v12
	s_mov_b64 s[44:45], 0
.LBB4_478:                              ;   Parent Loop BB4_401 Depth=1
                                        ; =>  This Inner Loop Header: Depth=2
	s_waitcnt lgkmcnt(0)
	v_add_co_u32_e64 v56, s[20:21], v22, v12
	v_addc_co_u32_e64 v57, s[20:21], v23, v11, s[20:21]
	global_load_dwordx4 v[44:47], v[56:57], off glc slc
	v_add_co_u32_e64 v12, s[20:21], v12, v52
	v_sub_u32_e32 v26, v26, v49
	v_addc_co_u32_e64 v11, s[20:21], v11, v53, s[20:21]
	v_cmp_gt_i32_e64 s[20:21], 16, v26
	v_sub_u32_e32 v50, v50, v10
	s_or_b64 s[44:45], s[20:21], s[44:45]
	s_waitcnt vmcnt(0)
	v_mul_f16_e32 v3, v22, v44
	v_mul_f16_sdwa v14, v22, v44 dst_sel:WORD_1 dst_unused:UNUSED_PAD src0_sel:DWORD src1_sel:WORD_1
	v_mul_f16_e32 v15, v22, v45
	v_mul_f16_sdwa v30, v22, v45 dst_sel:WORD_1 dst_unused:UNUSED_PAD src0_sel:DWORD src1_sel:WORD_1
	;; [unrolled: 2-line block ×4, first 2 shown]
	v_or_b32_e32 v45, v30, v15
	v_or_b32_e32 v44, v14, v3
	;; [unrolled: 1-line block ×4, first 2 shown]
	global_store_dwordx4 v[56:57], v[44:47], off glc slc
	s_andn2_b64 exec, exec, s[44:45]
	s_cbranch_execnz .LBB4_478
; %bb.479:                              ;   in Loop: Header=BB4_401 Depth=1
	s_or_b64 exec, exec, s[44:45]
	v_accvgpr_read_b32 v59, a7
	v_accvgpr_read_b32 v47, a9
	v_accvgpr_read_b32 v56, a2
	v_accvgpr_read_b32 v58, a6
	v_accvgpr_read_b32 v46, a8
.LBB4_480:                              ;   in Loop: Header=BB4_401 Depth=1
	s_or_b64 exec, exec, s[42:43]
	v_and_b32_e32 v11, 14, v43
	v_cndmask_b32_e32 v43, v51, v11, vcc
	v_cmp_ne_u32_e64 s[20:21], 0, v43
	s_mov_b64 s[42:43], 0
	v_mov_b32_e32 v44, 0
                                        ; implicit-def: $vgpr26
                                        ; implicit-def: $vgpr12
	s_and_saveexec_b64 s[44:45], s[20:21]
	s_cbranch_execz .LBB4_482
; %bb.481:                              ;   in Loop: Header=BB4_401 Depth=1
	v_sub_u32_e32 v3, v51, v11
	v_cndmask_b32_e32 v3, 0, v3, vcc
	v_cmp_lt_i32_e32 vcc, 0, v50
	v_add3_u32 v44, v27, v24, v3
	v_cndmask_b32_e32 v3, 0, v10, vcc
	v_sub_u32_e32 v3, v3, v50
	v_lshl_add_u32 v26, v3, 6, v25
	v_ashrrev_i32_e32 v3, 31, v26
	v_lshrrev_b32_e32 v3, 26, v3
	v_add_u32_e32 v3, v26, v3
	s_mov_b64 s[42:43], exec
	v_ashrrev_i32_e32 v12, 6, v3
.LBB4_482:                              ;   in Loop: Header=BB4_401 Depth=1
	s_or_b64 exec, exec, s[44:45]
	s_and_b64 s[42:43], s[42:43], exec
.LBB4_483:                              ;   in Loop: Header=BB4_401 Depth=1
	s_or_b64 exec, exec, s[40:41]
	s_and_saveexec_b64 s[20:21], s[42:43]
	s_cbranch_execz .LBB4_492
.LBB4_484:                              ;   in Loop: Header=BB4_401 Depth=1
	v_ashrrev_i32_e32 v3, 31, v43
	v_lshrrev_b32_e32 v3, 22, v3
	v_add_u32_e32 v3, v43, v3
	v_ashrrev_i32_e32 v46, 10, v3
	v_sub_u32_e32 v27, v46, v12
	v_ashrrev_i32_e32 v3, 31, v26
	v_cmp_lt_i32_e32 vcc, 0, v27
	v_lshrrev_b32_e32 v45, 26, v3
	s_and_saveexec_b64 s[40:41], vcc
	s_cbranch_execz .LBB4_488
; %bb.485:                              ;   in Loop: Header=BB4_401 Depth=1
	s_trap 2
	v_add_u32_e32 v3, v26, v45
	ds_read_b64 v[22:23], v0
	v_and_b32_e32 v3, 0x7fffffc0, v3
	v_sub_u32_e32 v3, v26, v3
	v_lshlrev_b32_e32 v3, 1, v3
	v_lshlrev_b32_e32 v11, 10, v12
	v_add3_u32 v12, v3, v44, v11
	v_ashrrev_i32_e32 v11, 31, v12
	s_mov_b64 s[42:43], 0
	s_waitcnt lgkmcnt(0)
	v_pk_mov_b32 v[24:25], v[22:23], v[22:23] op_sel:[0,1]
	v_pk_mov_b32 v[50:51], v[22:23], v[22:23] op_sel:[0,1]
.LBB4_486:                              ;   Parent Loop BB4_401 Depth=1
                                        ; =>  This Inner Loop Header: Depth=2
	v_add_co_u32_e32 v56, vcc, v12, v50
	v_addc_co_u32_e32 v57, vcc, v11, v51, vcc
	flat_load_ushort v3, v[56:57] glc slc
	flat_load_ushort v14, v[56:57] offset:128 glc slc
	flat_load_ushort v15, v[56:57] offset:256 glc slc
	;; [unrolled: 1-line block ×7, first 2 shown]
	v_add_co_u32_e32 v56, vcc, v12, v24
	v_addc_co_u32_e32 v57, vcc, v11, v25, vcc
	v_add_co_u32_e32 v50, vcc, v50, v52
	v_addc_co_u32_e32 v51, vcc, v51, v53, vcc
	v_add_co_u32_e32 v24, vcc, v24, v52
	v_sub_u32_e32 v27, v27, v10
	v_addc_co_u32_e32 v25, vcc, v25, v53, vcc
	v_cmp_gt_i32_e32 vcc, 1, v27
	s_or_b64 s[42:43], vcc, s[42:43]
	s_waitcnt vmcnt(0) lgkmcnt(0)
	v_mul_f16_e32 v3, v3, v22
	v_mul_f16_e32 v14, v14, v22
	;; [unrolled: 1-line block ×8, first 2 shown]
	flat_store_short v[56:57], v3 glc slc
	flat_store_short v[56:57], v14 offset:128 glc slc
	flat_store_short v[56:57], v15 offset:256 glc slc
	;; [unrolled: 1-line block ×7, first 2 shown]
	s_andn2_b64 exec, exec, s[42:43]
	s_cbranch_execnz .LBB4_486
; %bb.487:                              ;   in Loop: Header=BB4_401 Depth=1
	s_or_b64 exec, exec, s[42:43]
	v_accvgpr_read_b32 v59, a7
	v_accvgpr_read_b32 v56, a2
	;; [unrolled: 1-line block ×3, first 2 shown]
.LBB4_488:                              ;   in Loop: Header=BB4_401 Depth=1
	s_or_b64 exec, exec, s[40:41]
	v_lshlrev_b32_e32 v11, 10, v46
	v_cmp_ne_u32_e32 vcc, v43, v11
	v_accvgpr_read_b32 v47, a9
	s_and_b64 vcc, exec, vcc
	v_accvgpr_read_b32 v46, a8
	s_mov_b64 exec, vcc
	s_cbranch_execz .LBB4_492
; %bb.489:                              ;   in Loop: Header=BB4_401 Depth=1
	v_add_u32_e32 v3, v26, v45
	v_and_b32_e32 v3, 0xffffffc0, v3
	v_sub_u32_e32 v3, v26, v3
	v_lshlrev_b32_e32 v12, 6, v27
	v_sub_u32_e32 v3, v3, v12
	v_ashrrev_i32_e32 v12, 31, v3
	v_lshrrev_b32_e32 v12, 26, v12
	v_add_u32_e32 v12, v3, v12
	v_and_b32_e32 v14, 0x7fffffc0, v12
	v_sub_u32_e32 v3, v3, v14
	v_lshlrev_b32_e32 v12, 1, v12
	v_and_b32_e32 v12, 0xffffff80, v12
	v_lshlrev_b32_e32 v3, 1, v3
	v_add3_u32 v11, v12, v3, v11
	v_sub_u32_e32 v24, v43, v11
	v_cmp_lt_i32_e32 vcc, 1, v24
	s_and_b64 exec, exec, vcc
	s_cbranch_execz .LBB4_492
; %bb.490:                              ;   in Loop: Header=BB4_401 Depth=1
	s_trap 2
	ds_read_b64 v[22:23], v0
	v_add_u32_e32 v12, v11, v44
	v_ashrrev_i32_e32 v11, 31, v12
	s_mov_b64 s[40:41], 0
.LBB4_491:                              ;   Parent Loop BB4_401 Depth=1
                                        ; =>  This Inner Loop Header: Depth=2
	s_waitcnt lgkmcnt(0)
	v_add_co_u32_e32 v26, vcc, v22, v12
	v_addc_co_u32_e32 v27, vcc, v23, v11, vcc
	flat_load_ushort v3, v[26:27] glc slc
	v_add_co_u32_e32 v12, vcc, v12, v55
	v_sub_u32_e32 v24, v24, v54
	v_addc_co_u32_e32 v11, vcc, v11, v40, vcc
	v_cmp_gt_i32_e32 vcc, 2, v24
	s_or_b64 s[40:41], vcc, s[40:41]
	s_waitcnt vmcnt(0) lgkmcnt(0)
	v_mul_f16_e32 v3, v3, v22
	flat_store_short v[26:27], v3 glc slc
	s_andn2_b64 exec, exec, s[40:41]
	s_cbranch_execnz .LBB4_491
.LBB4_492:                              ;   in Loop: Header=BB4_401 Depth=1
	s_or_b64 exec, exec, s[20:21]
	v_cmp_ne_u32_e64 s[20:21], 0, v21
.LBB4_493:                              ;   in Loop: Header=BB4_401 Depth=1
	s_and_saveexec_b64 s[40:41], s[10:11]
	s_cbranch_execz .LBB4_512
; %bb.494:                              ;   in Loop: Header=BB4_401 Depth=1
	s_and_saveexec_b64 vcc, s[30:31]
	s_xor_b64 s[42:43], exec, vcc
	s_cbranch_execz .LBB4_509
; %bb.495:                              ;   in Loop: Header=BB4_401 Depth=1
	s_and_saveexec_b64 s[44:45], s[12:13]
	s_cbranch_execz .LBB4_508
; %bb.496:                              ;   in Loop: Header=BB4_401 Depth=1
	s_mov_b64 s[48:49], exec
	v_mbcnt_lo_u32_b32 v3, s48, 0
	v_mbcnt_hi_u32_b32 v3, s49, v3
	v_cmp_eq_u32_e32 vcc, 0, v3
	s_waitcnt vmcnt(0) lgkmcnt(0)
	buffer_wbinvl1_vol
	s_and_saveexec_b64 s[46:47], vcc
	s_cbranch_execz .LBB4_498
; %bb.497:                              ;   in Loop: Header=BB4_401 Depth=1
	s_bcnt1_i32_b64 vcc_lo, s[48:49]
	v_mov_b32_e32 v12, vcc_lo
	ds_add_u64 v0, v[12:13]
	s_trap 2
.LBB4_498:                              ;   in Loop: Header=BB4_401 Depth=1
	s_or_b64 exec, exec, s[46:47]
	s_trap 2
	ds_read_b64 v[22:23], v0
	v_add_co_u32_e32 v36, vcc, v36, v10
	v_addc_co_u32_e32 v37, vcc, 0, v37, vcc
	s_waitcnt lgkmcnt(0)
	v_cmp_lt_u64_e32 vcc, v[22:23], v[36:37]
	s_and_saveexec_b64 s[46:47], vcc
	s_cbranch_execz .LBB4_507
; %bb.499:                              ;   in Loop: Header=BB4_401 Depth=1
	s_mov_b32 s60, 0
	s_mov_b64 s[48:49], 0
                                        ; implicit-def: $sgpr50_sgpr51
                                        ; implicit-def: $sgpr52_sgpr53
	s_branch .LBB4_501
.LBB4_500:                              ;   in Loop: Header=BB4_501 Depth=2
	s_or_b64 exec, exec, s[56:57]
	s_and_b64 vcc, exec, vcc
	s_or_b64 s[48:49], vcc, s[48:49]
	s_andn2_b64 vcc, s[50:51], exec
	s_and_b64 s[50:51], s[52:53], exec
	s_or_b64 s[50:51], vcc, s[50:51]
	s_andn2_b64 exec, exec, s[48:49]
	s_cbranch_execz .LBB4_505
.LBB4_501:                              ;   Parent Loop BB4_401 Depth=1
                                        ; =>  This Inner Loop Header: Depth=2
	s_add_i32 s60, s60, 1
	s_cmpk_lg_i32 s60, 0x2710
	s_cselect_b64 s[54:55], -1, 0
	s_and_b64 vcc, exec, s[54:55]
                                        ; implicit-def: $sgpr56_sgpr57
	s_cbranch_vccnz .LBB4_503
; %bb.502:                              ;   in Loop: Header=BB4_501 Depth=2
	s_trap 2
	ds_read_b64 v[22:23], v0
	s_andn2_b64 s[54:55], s[54:55], exec
	s_mov_b32 s60, 0
	s_mov_b64 s[56:57], -1
	s_waitcnt lgkmcnt(0)
	flat_load_dword v3, v[22:23] glc
	s_waitcnt vmcnt(0) lgkmcnt(0)
	buffer_invl2
	buffer_wbinvl1_vol
	v_cmp_eq_u32_e32 vcc, 0, v3
	s_and_b64 vcc, vcc, exec
	s_or_b64 s[54:55], s[54:55], vcc
.LBB4_503:                              ;   in Loop: Header=BB4_501 Depth=2
	s_andn2_b64 s[52:53], s[52:53], exec
	s_and_b64 s[56:57], s[56:57], exec
	s_mov_b64 vcc, -1
	s_or_b64 s[52:53], s[52:53], s[56:57]
	s_and_saveexec_b64 s[56:57], s[54:55]
	s_cbranch_execz .LBB4_500
; %bb.504:                              ;   in Loop: Header=BB4_501 Depth=2
	s_sleep 1
	s_trap 2
	ds_read_b64 v[22:23], v0
	s_andn2_b64 s[52:53], s[52:53], exec
	s_waitcnt lgkmcnt(0)
	v_cmp_ge_u64_e32 vcc, v[22:23], v[36:37]
	s_orn2_b64 vcc, vcc, exec
	s_branch .LBB4_500
.LBB4_505:                              ;   in Loop: Header=BB4_401 Depth=1
	s_or_b64 exec, exec, s[48:49]
	s_and_saveexec_b64 vcc, s[50:51]
	s_xor_b64 vcc, exec, vcc
	s_cbranch_execz .LBB4_507
; %bb.506:                              ;   in Loop: Header=BB4_401 Depth=1
	ds_write_b32 v0, v41
	s_trap 2
.LBB4_507:                              ;   in Loop: Header=BB4_401 Depth=1
	s_or_b64 exec, exec, s[46:47]
	;;#ASMSTART
	s_wakeup
	;;#ASMEND
.LBB4_508:                              ;   in Loop: Header=BB4_401 Depth=1
	s_or_b64 exec, exec, s[44:45]
.LBB4_509:                              ;   in Loop: Header=BB4_401 Depth=1
	s_andn2_saveexec_b64 vcc, s[42:43]
	s_cbranch_execz .LBB4_511
; %bb.510:                              ;   in Loop: Header=BB4_401 Depth=1
	s_waitcnt vmcnt(0) lgkmcnt(0)
	buffer_wbinvl1_vol
	s_barrier
.LBB4_511:                              ;   in Loop: Header=BB4_401 Depth=1
	s_or_b64 exec, exec, vcc
.LBB4_512:                              ;   in Loop: Header=BB4_401 Depth=1
	s_or_b64 exec, exec, s[40:41]
	v_and_b32_e32 v11, 16, v2
	v_cmp_ne_u32_e32 vcc, 0, v11
	s_and_b64 vcc, vcc, s[20:21]
	s_and_saveexec_b64 s[20:21], vcc
	s_cbranch_execz .LBB4_514
; %bb.513:                              ;   in Loop: Header=BB4_401 Depth=1
	s_waitcnt vmcnt(0) lgkmcnt(0)
	buffer_wbinvl1_vol
.LBB4_514:                              ;   in Loop: Header=BB4_401 Depth=1
	s_or_b64 exec, exec, s[20:21]
	v_cmp_ne_u32_e32 vcc, 0, v11
	s_and_saveexec_b64 s[20:21], vcc
	s_cbranch_execz .LBB4_518
; %bb.515:                              ;   in Loop: Header=BB4_401 Depth=1
	s_and_saveexec_b64 vcc, s[18:19]
	s_cbranch_execz .LBB4_517
; %bb.516:                              ;   in Loop: Header=BB4_401 Depth=1
	flat_store_dword v[46:47], v41
.LBB4_517:                              ;   in Loop: Header=BB4_401 Depth=1
	s_or_b64 exec, exec, vcc
	v_add_co_u32_e32 v8, vcc, 1, v8
	v_addc_co_u32_e32 v9, vcc, 0, v9, vcc
	flat_store_dwordx2 v[28:29], v[8:9]
.LBB4_518:                              ;   in Loop: Header=BB4_401 Depth=1
	s_or_b64 exec, exec, s[20:21]
	v_mov_b32_e32 v11, v42
.LBB4_519:                              ;   in Loop: Header=BB4_401 Depth=1
	s_or_b64 exec, exec, s[38:39]
	s_and_saveexec_b64 s[38:39], s[36:37]
	s_cbranch_execz .LBB4_400
; %bb.520:                              ;   in Loop: Header=BB4_401 Depth=1
	v_and_b32_e32 v3, 8, v2
	v_cmp_ne_u32_e32 vcc, 0, v3
	s_mov_b64 s[36:37], -1
	s_and_saveexec_b64 s[20:21], vcc
	s_cbranch_execz .LBB4_532
; %bb.521:                              ;   in Loop: Header=BB4_401 Depth=1
	v_add_co_u32_e32 v24, vcc, 8, v34
	v_addc_co_u32_e32 v25, vcc, 0, v35, vcc
	v_add_co_u32_e32 v22, vcc, 1, v8
	v_addc_co_u32_e32 v23, vcc, 0, v9, vcc
	v_cmp_lt_u64_e32 vcc, v[24:25], v[22:23]
	v_mov_b32_e32 v12, 1
	s_and_saveexec_b64 s[36:37], vcc
	s_cbranch_execz .LBB4_531
; %bb.522:                              ;   in Loop: Header=BB4_401 Depth=1
	s_mov_b64 s[40:41], 0
	v_mov_b32_e32 v12, 0
                                        ; implicit-def: $sgpr42_sgpr43
	s_branch .LBB4_526
.LBB4_523:                              ;   in Loop: Header=BB4_526 Depth=2
	s_or_b64 exec, exec, s[50:51]
	v_mov_b32_e32 v21, 0
	s_orn2_b64 s[48:49], s[48:49], exec
.LBB4_524:                              ;   in Loop: Header=BB4_526 Depth=2
	s_or_b64 exec, exec, s[46:47]
	s_andn2_b64 vcc, s[42:43], exec
	s_and_b64 s[42:43], s[48:49], exec
	s_or_b64 s[42:43], vcc, s[42:43]
	v_mov_b32_e32 v12, v21
.LBB4_525:                              ;   in Loop: Header=BB4_526 Depth=2
	s_or_b64 exec, exec, s[44:45]
	s_waitcnt vmcnt(0) lgkmcnt(0)
	v_add_co_u32_e32 v24, vcc, 8, v34
	v_addc_co_u32_e32 v25, vcc, 0, v35, vcc
	v_cmp_ge_u64_e32 vcc, v[24:25], v[22:23]
	s_xor_b64 s[44:45], s[42:43], -1
	s_or_b64 vcc, s[44:45], vcc
	s_and_b64 vcc, exec, vcc
	s_or_b64 s[40:41], vcc, s[40:41]
	s_andn2_b64 exec, exec, s[40:41]
	s_cbranch_execz .LBB4_530
.LBB4_526:                              ;   Parent Loop BB4_401 Depth=1
                                        ; =>  This Inner Loop Header: Depth=2
	s_sleep 1
	flat_load_dwordx2 v[34:35], v[28:29] glc
	v_and_b32_e32 v3, 64, v2
	v_cmp_eq_u32_e32 vcc, 0, v3
	s_andn2_b64 s[42:43], s[42:43], exec
	s_and_saveexec_b64 s[44:45], vcc
	s_cbranch_execz .LBB4_525
; %bb.527:                              ;   in Loop: Header=BB4_526 Depth=2
	v_add_u32_e32 v21, 1, v12
	v_cmp_lt_i32_e32 vcc, s59, v12
	s_mov_b64 s[48:49], -1
	s_and_saveexec_b64 s[46:47], vcc
	s_cbranch_execz .LBB4_524
; %bb.528:                              ;   in Loop: Header=BB4_526 Depth=2
	s_trap 2
	ds_read_b64 v[24:25], v0
	s_waitcnt vmcnt(0) lgkmcnt(0)
	flat_load_dword v12, v[24:25] glc
	s_waitcnt vmcnt(0) lgkmcnt(0)
	buffer_invl2
	buffer_wbinvl1_vol
	v_cmp_ne_u32_e32 vcc, 0, v12
	s_and_saveexec_b64 s[50:51], vcc
	s_cbranch_execz .LBB4_523
; %bb.529:                              ;   in Loop: Header=BB4_526 Depth=2
	v_or_b32_e32 v2, 64, v2
	s_xor_b64 s[48:49], exec, -1
	ds_write_b32 v0, v12
	s_trap 2
	s_branch .LBB4_523
.LBB4_530:                              ;   in Loop: Header=BB4_401 Depth=1
	s_or_b64 exec, exec, s[40:41]
	v_and_b32_e32 v12, 8, v2
.LBB4_531:                              ;   in Loop: Header=BB4_401 Depth=1
	s_or_b64 exec, exec, s[36:37]
	v_cmp_eq_u32_e32 vcc, 0, v12
	s_orn2_b64 s[36:37], vcc, exec
	;;#ASMSTART
	s_wakeup
	;;#ASMEND
.LBB4_532:                              ;   in Loop: Header=BB4_401 Depth=1
	s_or_b64 exec, exec, s[20:21]
	v_sub_u32_e32 v3, v20, v11
	s_xor_b64 s[20:21], s[36:37], -1
	v_min_i32_e32 v20, v42, v3
	s_and_saveexec_b64 s[36:37], s[20:21]
	s_cbranch_execz .LBB4_542
; %bb.533:                              ;   in Loop: Header=BB4_401 Depth=1
	v_and_b32_e32 v3, 0x100, v2
	v_cmp_ne_u32_e32 vcc, 0, v3
	v_and_b32_e32 v11, 7, v8
	s_mov_b64 s[20:21], -1
                                        ; implicit-def: $vgpr22_vgpr23
	s_and_saveexec_b64 s[40:41], vcc
	s_cbranch_execz .LBB4_537
; %bb.534:                              ;   in Loop: Header=BB4_401 Depth=1
	v_mad_u64_u32 v[24:25], s[20:21], v11, 24, v[6:7]
	flat_load_dword v3, v[24:25]
	v_ashrrev_i32_e32 v21, 31, v20
	v_lshlrev_b64 v[22:23], 1, v[20:21]
	flat_store_dwordx2 v[24:25], v[22:23] offset:8
                                        ; implicit-def: $vgpr22_vgpr23
	s_waitcnt vmcnt(0) lgkmcnt(0)
	v_cmp_ne_u32_e32 vcc, 1, v3
	v_cmp_eq_u32_e64 s[20:21], 1, v3
	s_and_saveexec_b64 s[42:43], s[20:21]
	s_cbranch_execz .LBB4_536
; %bb.535:                              ;   in Loop: Header=BB4_401 Depth=1
	flat_load_dword v22, v[24:25] offset:4 glc
	s_waitcnt vmcnt(0) lgkmcnt(0)
	v_ashrrev_i32_e32 v23, 31, v22
	v_lshrrev_b64 v[22:23], 1, v[22:23]
.LBB4_536:                              ;   in Loop: Header=BB4_401 Depth=1
	s_or_b64 exec, exec, s[42:43]
	s_orn2_b64 s[20:21], vcc, exec
.LBB4_537:                              ;   in Loop: Header=BB4_401 Depth=1
	s_or_b64 exec, exec, s[40:41]
	s_and_saveexec_b64 vcc, s[20:21]
; %bb.538:                              ;   in Loop: Header=BB4_401 Depth=1
	v_mad_i64_i32 v[22:23], s[20:21], v11, v56, 0
; %bb.539:                              ;   in Loop: Header=BB4_401 Depth=1
	s_or_b64 exec, exec, vcc
	v_lshlrev_b64 v[22:23], 1, v[22:23]
	v_add_co_u32_e32 v22, vcc, v58, v22
	v_addc_co_u32_e32 v23, vcc, v59, v23, vcc
	v_and_b32_e32 v3, 0x2000, v2
	v_cmp_ne_u32_e32 vcc, 0, v3
	ds_write_b64 v0, v[22:23] offset:784
	s_and_saveexec_b64 s[20:21], vcc
	s_cbranch_execz .LBB4_541
; %bb.540:                              ;   in Loop: Header=BB4_401 Depth=1
	ds_read_b64 v[22:23], v0 offset:584
	s_waitcnt lgkmcnt(0)
	v_add_co_u32_e32 v22, vcc, 1, v22
	v_addc_co_u32_e32 v23, vcc, 0, v23, vcc
	ds_write_b64 v0, v[22:23] offset:584
.LBB4_541:                              ;   in Loop: Header=BB4_401 Depth=1
	s_or_b64 exec, exec, s[20:21]
	v_add_co_u32_e32 v8, vcc, 1, v8
	v_addc_co_u32_e32 v9, vcc, 0, v9, vcc
.LBB4_542:                              ;   in Loop: Header=BB4_401 Depth=1
	s_or_b64 exec, exec, s[36:37]
	s_and_saveexec_b64 s[20:21], s[10:11]
	s_cbranch_execz .LBB4_561
; %bb.543:                              ;   in Loop: Header=BB4_401 Depth=1
	s_and_saveexec_b64 vcc, s[30:31]
	s_xor_b64 s[36:37], exec, vcc
	s_cbranch_execz .LBB4_558
; %bb.544:                              ;   in Loop: Header=BB4_401 Depth=1
	s_and_saveexec_b64 s[40:41], s[12:13]
	s_cbranch_execz .LBB4_557
; %bb.545:                              ;   in Loop: Header=BB4_401 Depth=1
	s_mov_b64 s[44:45], exec
	v_mbcnt_lo_u32_b32 v3, s44, 0
	v_mbcnt_hi_u32_b32 v3, s45, v3
	v_cmp_eq_u32_e32 vcc, 0, v3
	s_waitcnt vmcnt(0) lgkmcnt(0)
	buffer_wbinvl1_vol
	s_and_saveexec_b64 s[42:43], vcc
	s_cbranch_execz .LBB4_547
; %bb.546:                              ;   in Loop: Header=BB4_401 Depth=1
	s_bcnt1_i32_b64 vcc_lo, s[44:45]
	v_mov_b32_e32 v12, vcc_lo
	ds_add_u64 v0, v[12:13]
	s_trap 2
.LBB4_547:                              ;   in Loop: Header=BB4_401 Depth=1
	s_or_b64 exec, exec, s[42:43]
	s_trap 2
	ds_read_b64 v[22:23], v0
	v_add_co_u32_e32 v36, vcc, v36, v10
	v_addc_co_u32_e32 v37, vcc, 0, v37, vcc
	s_waitcnt lgkmcnt(0)
	v_cmp_lt_u64_e32 vcc, v[22:23], v[36:37]
	s_and_saveexec_b64 s[42:43], vcc
	s_cbranch_execz .LBB4_556
; %bb.548:                              ;   in Loop: Header=BB4_401 Depth=1
	s_mov_b32 s54, 0
	s_mov_b64 s[44:45], 0
                                        ; implicit-def: $sgpr46_sgpr47
                                        ; implicit-def: $sgpr48_sgpr49
	s_branch .LBB4_550
.LBB4_549:                              ;   in Loop: Header=BB4_550 Depth=2
	s_or_b64 exec, exec, s[52:53]
	s_and_b64 vcc, exec, vcc
	s_or_b64 s[44:45], vcc, s[44:45]
	s_andn2_b64 vcc, s[46:47], exec
	s_and_b64 s[46:47], s[48:49], exec
	s_or_b64 s[46:47], vcc, s[46:47]
	s_andn2_b64 exec, exec, s[44:45]
	s_cbranch_execz .LBB4_554
.LBB4_550:                              ;   Parent Loop BB4_401 Depth=1
                                        ; =>  This Inner Loop Header: Depth=2
	s_add_i32 s54, s54, 1
	s_cmpk_lg_i32 s54, 0x2710
	s_cselect_b64 s[50:51], -1, 0
	s_and_b64 vcc, exec, s[50:51]
                                        ; implicit-def: $sgpr52_sgpr53
	s_cbranch_vccnz .LBB4_552
; %bb.551:                              ;   in Loop: Header=BB4_550 Depth=2
	s_trap 2
	ds_read_b64 v[22:23], v0
	s_andn2_b64 s[50:51], s[50:51], exec
	s_mov_b32 s54, 0
	s_mov_b64 s[52:53], -1
	s_waitcnt lgkmcnt(0)
	flat_load_dword v3, v[22:23] glc
	s_waitcnt vmcnt(0) lgkmcnt(0)
	buffer_invl2
	buffer_wbinvl1_vol
	v_cmp_eq_u32_e32 vcc, 0, v3
	s_and_b64 vcc, vcc, exec
	s_or_b64 s[50:51], s[50:51], vcc
.LBB4_552:                              ;   in Loop: Header=BB4_550 Depth=2
	s_andn2_b64 s[48:49], s[48:49], exec
	s_and_b64 s[52:53], s[52:53], exec
	s_mov_b64 vcc, -1
	s_or_b64 s[48:49], s[48:49], s[52:53]
	s_and_saveexec_b64 s[52:53], s[50:51]
	s_cbranch_execz .LBB4_549
; %bb.553:                              ;   in Loop: Header=BB4_550 Depth=2
	s_sleep 1
	s_trap 2
	ds_read_b64 v[22:23], v0
	s_andn2_b64 s[48:49], s[48:49], exec
	s_waitcnt lgkmcnt(0)
	v_cmp_ge_u64_e32 vcc, v[22:23], v[36:37]
	s_orn2_b64 vcc, vcc, exec
	s_branch .LBB4_549
.LBB4_554:                              ;   in Loop: Header=BB4_401 Depth=1
	s_or_b64 exec, exec, s[44:45]
	s_and_saveexec_b64 vcc, s[46:47]
	s_xor_b64 vcc, exec, vcc
	s_cbranch_execz .LBB4_556
; %bb.555:                              ;   in Loop: Header=BB4_401 Depth=1
	ds_write_b32 v0, v41
	s_trap 2
.LBB4_556:                              ;   in Loop: Header=BB4_401 Depth=1
	s_or_b64 exec, exec, s[42:43]
	;;#ASMSTART
	s_wakeup
	;;#ASMEND
.LBB4_557:                              ;   in Loop: Header=BB4_401 Depth=1
	s_or_b64 exec, exec, s[40:41]
.LBB4_558:                              ;   in Loop: Header=BB4_401 Depth=1
	s_andn2_saveexec_b64 vcc, s[36:37]
	s_cbranch_execz .LBB4_560
; %bb.559:                              ;   in Loop: Header=BB4_401 Depth=1
	s_waitcnt vmcnt(0) lgkmcnt(0)
	buffer_wbinvl1_vol
	s_barrier
.LBB4_560:                              ;   in Loop: Header=BB4_401 Depth=1
	s_or_b64 exec, exec, vcc
.LBB4_561:                              ;   in Loop: Header=BB4_401 Depth=1
	s_or_b64 exec, exec, s[20:21]
	s_trap 2
	ds_read_b32 v3, v0
	v_cmp_lt_i32_e32 vcc, 0, v20
	v_and_b32_e32 v11, 16, v2
	s_waitcnt lgkmcnt(0)
	v_readfirstlane_b32 s20, v3
	s_cmp_eq_u32 s20, 0
	s_cselect_b64 s[20:21], -1, 0
	s_and_b64 s[20:21], vcc, s[20:21]
	v_cmp_ne_u32_e32 vcc, 0, v11
	s_and_b64 vcc, vcc, s[20:21]
	s_and_saveexec_b64 s[20:21], vcc
	s_cbranch_execz .LBB4_563
; %bb.562:                              ;   in Loop: Header=BB4_401 Depth=1
	s_waitcnt vmcnt(0)
	buffer_wbinvl1_vol
.LBB4_563:                              ;   in Loop: Header=BB4_401 Depth=1
	s_or_b64 exec, exec, s[20:21]
	v_cmp_ne_u32_e32 vcc, 0, v11
	s_and_saveexec_b64 s[20:21], vcc
	s_cbranch_execz .LBB4_399
; %bb.564:                              ;   in Loop: Header=BB4_401 Depth=1
	s_and_saveexec_b64 vcc, s[18:19]
	s_cbranch_execz .LBB4_398
; %bb.565:                              ;   in Loop: Header=BB4_401 Depth=1
	flat_store_dword v[46:47], v41
	s_branch .LBB4_398
.LBB4_566:
	s_or_b64 exec, exec, s[28:29]
	v_accvgpr_read_b32 v27, a1
	v_mov_b32_e32 v1, v0
	v_mov_b32_e32 v31, v32
	v_mov_b32_e32 v25, v33
	v_accvgpr_read_b32 v26, a0
.LBB4_567:
	s_or_b64 exec, exec, s[26:27]
.LBB4_568:
	s_or_b64 exec, exec, s[22:23]
	v_and_b32_e32 v0, 0x800, v2
	v_cmp_eq_u32_e32 vcc, 0, v0
	s_and_saveexec_b64 s[4:5], vcc
	s_cbranch_execz .LBB4_603
; %bb.569:
	v_and_b32_e32 v0, 48, v2
	v_cmp_ne_u32_e32 vcc, 0, v0
	s_and_saveexec_b64 s[6:7], vcc
	s_cbranch_execz .LBB4_571
; %bb.570:
	s_waitcnt vmcnt(0) lgkmcnt(0)
	flat_store_dwordx2 v[26:27], v[8:9] offset:104
.LBB4_571:
	s_or_b64 exec, exec, s[6:7]
	s_movk_i32 s6, 0x88
	v_and_b32_e32 v0, 0x88, v2
	v_cmp_eq_u32_e32 vcc, s6, v0
	s_and_saveexec_b64 s[6:7], vcc
	s_cbranch_execz .LBB4_583
; %bb.572:
	s_waitcnt vmcnt(0) lgkmcnt(0)
	v_add_u32_e32 v0, -1, v8
	v_and_b32_e32 v0, 7, v0
	v_mad_u64_u32 v[4:5], s[10:11], v0, 24, v[6:7]
	v_add_co_u32_e32 v4, vcc, 8, v4
	v_addc_co_u32_e32 v5, vcc, 0, v5, vcc
	s_mov_b64 s[10:11], 0
	v_mov_b32_e32 v0, 0
	s_movk_i32 s26, 0x270e
                                        ; implicit-def: $sgpr12_sgpr13
	s_branch .LBB4_577
.LBB4_573:                              ;   in Loop: Header=BB4_577 Depth=1
	s_or_b64 exec, exec, s[22:23]
	v_mov_b32_e32 v3, 0
	s_orn2_b64 s[20:21], s[20:21], exec
.LBB4_574:                              ;   in Loop: Header=BB4_577 Depth=1
	s_or_b64 exec, exec, s[18:19]
	s_and_b64 s[18:19], s[20:21], exec
	v_mov_b32_e32 v0, v3
.LBB4_575:                              ;   in Loop: Header=BB4_577 Depth=1
	s_or_b64 exec, exec, s[16:17]
	s_xor_b64 s[16:17], s[18:19], -1
	s_andn2_b64 s[12:13], s[12:13], exec
	s_and_b64 s[16:17], s[16:17], exec
	s_or_b64 s[12:13], s[12:13], s[16:17]
.LBB4_576:                              ;   in Loop: Header=BB4_577 Depth=1
	s_or_b64 exec, exec, s[14:15]
	s_and_b64 s[14:15], exec, s[12:13]
	s_or_b64 s[10:11], s[14:15], s[10:11]
	s_andn2_b64 exec, exec, s[10:11]
	s_cbranch_execz .LBB4_582
.LBB4_577:                              ; =>This Inner Loop Header: Depth=1
	flat_load_dwordx2 v[6:7], v[4:5] glc
	s_waitcnt vmcnt(0)
	s_or_b64 s[12:13], s[12:13], exec
	s_waitcnt lgkmcnt(0)
	v_cmp_ne_u64_e32 vcc, -1, v[6:7]
	s_and_saveexec_b64 s[14:15], vcc
	s_cbranch_execz .LBB4_576
; %bb.578:                              ;   in Loop: Header=BB4_577 Depth=1
	v_and_b32_e32 v3, 64, v2
	v_cmp_eq_u32_e32 vcc, 0, v3
	s_mov_b64 s[18:19], 0
	s_and_saveexec_b64 s[16:17], vcc
	s_cbranch_execz .LBB4_575
; %bb.579:                              ;   in Loop: Header=BB4_577 Depth=1
	v_add_u32_e32 v3, 1, v0
	v_cmp_lt_i32_e32 vcc, s26, v0
	s_mov_b64 s[20:21], -1
	s_and_saveexec_b64 s[18:19], vcc
	s_cbranch_execz .LBB4_574
; %bb.580:                              ;   in Loop: Header=BB4_577 Depth=1
	s_trap 2
	ds_read_b64 v[6:7], v0
	s_waitcnt lgkmcnt(0)
	flat_load_dword v0, v[6:7] glc
	s_waitcnt vmcnt(0) lgkmcnt(0)
	buffer_invl2
	buffer_wbinvl1_vol
	v_cmp_ne_u32_e32 vcc, 0, v0
	s_and_saveexec_b64 s[22:23], vcc
	s_cbranch_execz .LBB4_573
; %bb.581:                              ;   in Loop: Header=BB4_577 Depth=1
	v_or_b32_e32 v2, 64, v2
	s_xor_b64 s[20:21], exec, -1
	ds_write_b32 v0, v0
	s_trap 2
	s_branch .LBB4_573
.LBB4_582:
	s_or_b64 exec, exec, s[10:11]
.LBB4_583:
	s_or_b64 exec, exec, s[6:7]
	v_and_b32_e32 v0, 0x2000, v2
	v_cmp_ne_u32_e32 vcc, 0, v0
	s_and_saveexec_b64 s[6:7], vcc
	s_cbranch_execz .LBB4_585
; %bb.584:
	s_trap 2
	ds_read_b64 v[2:3], v0
	v_accvgpr_read_b32 v4, a4
	v_accvgpr_read_b32 v5, a5
	s_waitcnt lgkmcnt(0)
	flat_store_dwordx2 v[4:5], v[2:3] offset:16
.LBB4_585:
	s_or_b64 exec, exec, s[6:7]
	v_cmp_ne_u32_e32 vcc, 64, v1
	s_and_b64 exec, exec, vcc
	s_cbranch_execz .LBB4_603
; %bb.586:
	s_waitcnt vmcnt(0)
	v_cmp_ne_u32_sdwa s[6:7], v25, v1 src0_sel:WORD_0 src1_sel:DWORD
	s_and_saveexec_b64 s[10:11], s[6:7]
	s_xor_b64 s[6:7], exec, s[10:11]
	s_cbranch_execz .LBB4_601
; %bb.587:
	v_and_b32_e32 v0, 63, v31
	v_cmp_eq_u32_e32 vcc, 0, v0
	s_and_saveexec_b64 s[10:11], vcc
	s_cbranch_execz .LBB4_600
; %bb.588:
	s_mov_b64 s[14:15], exec
	v_mbcnt_lo_u32_b32 v0, s14, 0
	v_mbcnt_hi_u32_b32 v0, s15, v0
	v_cmp_eq_u32_e32 vcc, 0, v0
	s_waitcnt lgkmcnt(0)
	buffer_wbinvl1_vol
	s_and_saveexec_b64 s[12:13], vcc
	s_cbranch_execz .LBB4_590
; %bb.589:
	s_bcnt1_i32_b64 s14, s[14:15]
	v_mov_b32_e32 v2, s14
	v_mov_b32_e32 v3, 0
	ds_add_u64 v0, v[2:3]
	s_trap 2
.LBB4_590:
	s_or_b64 exec, exec, s[12:13]
	v_ashrrev_i32_e32 v0, 31, v1
	v_lshrrev_b32_e32 v0, 26, v0
	v_add_u32_e32 v0, v1, v0
	v_ashrrev_i32_e32 v0, 6, v0
	s_trap 2
	ds_read_b64 v[2:3], v0
	v_ashrrev_i32_e32 v1, 31, v0
	v_add_co_u32_e32 v0, vcc, v36, v0
	v_addc_co_u32_e32 v1, vcc, v37, v1, vcc
	s_waitcnt lgkmcnt(0)
	v_cmp_lt_u64_e32 vcc, v[2:3], v[0:1]
	s_and_saveexec_b64 s[12:13], vcc
	s_cbranch_execz .LBB4_599
; %bb.591:
	s_mov_b32 s28, 0
	s_mov_b64 s[14:15], 0
                                        ; implicit-def: $sgpr16_sgpr17
                                        ; implicit-def: $sgpr18_sgpr19
	s_branch .LBB4_593
.LBB4_592:                              ;   in Loop: Header=BB4_593 Depth=1
	s_or_b64 exec, exec, s[26:27]
	s_and_b64 s[20:21], exec, s[22:23]
	s_or_b64 s[14:15], s[20:21], s[14:15]
	s_andn2_b64 s[16:17], s[16:17], exec
	s_and_b64 s[20:21], s[18:19], exec
	s_or_b64 s[16:17], s[16:17], s[20:21]
	s_andn2_b64 exec, exec, s[14:15]
	s_cbranch_execz .LBB4_597
.LBB4_593:                              ; =>This Inner Loop Header: Depth=1
	s_add_i32 s28, s28, 1
	s_cmpk_lg_i32 s28, 0x2710
	s_cselect_b64 s[20:21], -1, 0
	s_and_b64 vcc, exec, s[20:21]
                                        ; implicit-def: $sgpr26_sgpr27
	s_cbranch_vccnz .LBB4_595
; %bb.594:                              ;   in Loop: Header=BB4_593 Depth=1
	s_trap 2
	ds_read_b64 v[2:3], v0
	s_andn2_b64 s[20:21], s[20:21], exec
	s_mov_b32 s28, 0
	s_mov_b64 s[26:27], -1
	s_waitcnt lgkmcnt(0)
	flat_load_dword v2, v[2:3] glc
	s_waitcnt vmcnt(0) lgkmcnt(0)
	buffer_invl2
	buffer_wbinvl1_vol
	v_cmp_eq_u32_e32 vcc, 0, v2
	s_and_b64 s[22:23], vcc, exec
	s_or_b64 s[20:21], s[20:21], s[22:23]
.LBB4_595:                              ;   in Loop: Header=BB4_593 Depth=1
	s_andn2_b64 s[18:19], s[18:19], exec
	s_and_b64 s[26:27], s[26:27], exec
	s_mov_b64 s[22:23], -1
	s_or_b64 s[18:19], s[18:19], s[26:27]
	s_and_saveexec_b64 s[26:27], s[20:21]
	s_cbranch_execz .LBB4_592
; %bb.596:                              ;   in Loop: Header=BB4_593 Depth=1
	s_sleep 1
	s_trap 2
	ds_read_b64 v[2:3], v0
	s_andn2_b64 s[18:19], s[18:19], exec
	s_waitcnt lgkmcnt(0)
	v_cmp_ge_u64_e32 vcc, v[2:3], v[0:1]
	s_orn2_b64 s[22:23], vcc, exec
	s_branch .LBB4_592
.LBB4_597:
	s_or_b64 exec, exec, s[14:15]
	s_and_saveexec_b64 s[14:15], s[16:17]
	s_xor_b64 s[14:15], exec, s[14:15]
	s_cbranch_execz .LBB4_599
; %bb.598:
	v_mov_b32_e32 v0, 1
	ds_write_b32 v0, v0
	s_trap 2
.LBB4_599:
	s_or_b64 exec, exec, s[12:13]
	;;#ASMSTART
	s_wakeup
	;;#ASMEND
.LBB4_600:
	s_or_b64 exec, exec, s[10:11]
.LBB4_601:
	s_andn2_saveexec_b64 s[6:7], s[6:7]
	s_cbranch_execz .LBB4_603
; %bb.602:
	s_waitcnt lgkmcnt(0)
	buffer_wbinvl1_vol
	s_barrier
.LBB4_603:
	s_or_b64 exec, exec, s[4:5]
.LBB4_604:
	s_andn2_saveexec_b64 s[26:27], s[24:25]
	s_cbranch_execz .LBB4_606
; %bb.605:
	s_getpc_b64 s[4:5]
	s_add_u32 s4, s4, __PRETTY_FUNCTION__._ZN10PrimitivesI6__half13FuncPreMulSumIS0_E12FanSymmetricILi1EELi0E11ProtoSimpleILi1ELi1ELi0ELi2ELi0ELi0EELi0ELb0ELi0ELi0ELi0EEC2EiiPKiS9_PKvPvmhhhP15ncclDevWorkCollP14ncclDevWorkP2pii@rel32@lo+4
	s_addc_u32 s5, s5, __PRETTY_FUNCTION__._ZN10PrimitivesI6__half13FuncPreMulSumIS0_E12FanSymmetricILi1EELi0E11ProtoSimpleILi1ELi1ELi0ELi2ELi0ELi0EELi0ELb0ELi0ELi0ELi0EEC2EiiPKiS9_PKvPvmhhhP15ncclDevWorkCollP14ncclDevWorkP2pii@rel32@hi+12
	v_mov_b32_e32 v0, s4
	v_mov_b32_e32 v1, s5
	s_getpc_b64 s[6:7]
	s_add_u32 s6, s6, __assert_fail@rel32@lo+4
	s_addc_u32 s7, s7, __assert_fail@rel32@hi+12
	s_swappc_b64 s[30:31], s[6:7]
	; divergent unreachable
.LBB4_606:
	s_or_b64 exec, exec, s[26:27]
	buffer_load_dword v62, off, s[0:3], s33 ; 4-byte Folded Reload
	buffer_load_dword v61, off, s[0:3], s33 offset:4 ; 4-byte Folded Reload
	buffer_load_dword v60, off, s[0:3], s33 offset:8 ; 4-byte Folded Reload
	s_waitcnt lgkmcnt(0)
	buffer_load_dword v59, off, s[0:3], s33 offset:12 ; 4-byte Folded Reload
	buffer_load_dword v58, off, s[0:3], s33 offset:16 ; 4-byte Folded Reload
	;; [unrolled: 1-line block ×7, first 2 shown]
	v_readlane_b32 s30, v63, 33
	v_readlane_b32 s31, v63, 34
	;; [unrolled: 1-line block ×35, first 2 shown]
	v_accvgpr_read_b32 v44, a31             ;  Reload Reuse
	v_accvgpr_read_b32 v43, a30             ;  Reload Reuse
	;; [unrolled: 1-line block ×5, first 2 shown]
	v_readlane_b32 s4, v63, 35
	s_or_saveexec_b64 s[6:7], -1
	buffer_load_dword v63, off, s[0:3], s33 offset:40 ; 4-byte Folded Reload
	s_mov_b64 exec, s[6:7]
	s_addk_i32 s32, 0xf400
	s_mov_b32 s33, s4
	s_waitcnt vmcnt(0)
	s_setpc_b64 s[30:31]
.Lfunc_end4:
	.size	_ZN12_GLOBAL__N_17runRingI6__half13FuncPreMulSumIS1_E11ProtoSimpleILi1ELi1ELi0ELi2ELi0ELi0EELi0ELi2ELi0EEEviiP15ncclDevWorkColl, .Lfunc_end4-_ZN12_GLOBAL__N_17runRingI6__half13FuncPreMulSumIS1_E11ProtoSimpleILi1ELi1ELi0ELi2ELi0ELi0EELi0ELi2ELi0EEEviiP15ncclDevWorkColl
                                        ; -- End function
	.section	.AMDGPU.csdata,"",@progbits
; Function info:
; codeLenInByte = 20388
; NumSgprs: 71
; NumVgprs: 64
; NumAgprs: 32
; TotalNumVgprs: 96
; ScratchSize: 112
; MemoryBound: 1
	.text
	.p2align	2                               ; -- Begin function _Z50ncclDevFunc_Reduce_RING_SIMPLE_PreMulSum_f16_0_0_2v
	.type	_Z50ncclDevFunc_Reduce_RING_SIMPLE_PreMulSum_f16_0_0_2v,@function
_Z50ncclDevFunc_Reduce_RING_SIMPLE_PreMulSum_f16_0_0_2v: ; @_Z50ncclDevFunc_Reduce_RING_SIMPLE_PreMulSum_f16_0_0_2v
; %bb.0:
	s_waitcnt vmcnt(0) expcnt(0) lgkmcnt(0)
	s_mov_b32 s4, s33
	s_mov_b32 s33, s32
	s_or_saveexec_b64 s[6:7], -1
	buffer_store_dword v43, off, s[0:3], s33 offset:16 ; 4-byte Folded Spill
	s_mov_b64 exec, s[6:7]
	v_writelane_b32 v43, s4, 43
	s_addk_i32 s32, 0x800
	buffer_store_dword v40, off, s[0:3], s33 offset:12 ; 4-byte Folded Spill
	buffer_store_dword v41, off, s[0:3], s33 offset:8 ; 4-byte Folded Spill
	;; [unrolled: 1-line block ×3, first 2 shown]
	buffer_store_dword v63, off, s[0:3], s33 ; 4-byte Folded Spill
	v_writelane_b32 v43, s34, 0
	v_writelane_b32 v43, s35, 1
	;; [unrolled: 1-line block ×43, first 2 shown]
	s_trap 2
	ds_read_b32 v0, v0
	v_mov_b32_e32 v40, v31
	v_and_b32_e32 v41, 0x3ff, v40
	s_mov_b32 s67, s12
	s_mov_b64 s[68:69], s[8:9]
	s_waitcnt lgkmcnt(0)
	v_cmp_lt_i32_e32 vcc, v41, v0
	s_and_saveexec_b64 s[4:5], vcc
	s_cbranch_execz .LBB5_5
; %bb.1:
	s_load_dword s6, s[68:69], 0x0
	v_mov_b32_e32 v1, 0
	s_mov_b32 s10, 0
	v_mov_b32_e32 v4, v41
                                        ; implicit-def: $vgpr2
	s_waitcnt lgkmcnt(0)
	s_cmp_lt_u32 s67, s6
	s_cselect_b32 s6, 12, 18
	s_add_u32 s6, s68, s6
	s_addc_u32 s7, s69, 0
	global_load_ushort v1, v1, s[6:7]
	s_trap 2
	ds_read_b32 v3, v0
	s_mov_b64 s[6:7], 0
	s_waitcnt vmcnt(0) lgkmcnt(0)
	v_mul_lo_u32 v3, v3, v1
	s_branch .LBB5_3
.LBB5_2:                                ;   in Loop: Header=BB5_3 Depth=1
	s_or_b64 exec, exec, s[8:9]
	v_add_u32_e32 v4, v4, v1
	v_cmp_ge_i32_e32 vcc, v4, v0
	s_or_b64 s[6:7], vcc, s[6:7]
	v_add_u32_e32 v2, v2, v3
	s_andn2_b64 exec, exec, s[6:7]
	s_cbranch_execz .LBB5_5
.LBB5_3:                                ; =>This Inner Loop Header: Depth=1
	ds_read_b32 v5, v2
	s_waitcnt lgkmcnt(0)
	v_and_b32_e32 v5, 0x1000000, v5
	v_cmp_ne_u32_e32 vcc, 0, v5
	s_and_saveexec_b64 s[8:9], vcc
	s_cbranch_execz .LBB5_2
; %bb.4:                                ;   in Loop: Header=BB5_3 Depth=1
	ds_read_b64 v[6:7], v2 offset:104
	s_waitcnt lgkmcnt(0)
	flat_load_ushort v5, v[6:7]
	v_mov_b32_e32 v7, s10
	s_waitcnt vmcnt(0) lgkmcnt(0)
	v_and_b32_e32 v6, 0xffff, v5
	ds_write_b64 v2, v[6:7] offset:104
	s_branch .LBB5_2
.LBB5_5:
	s_or_b64 exec, exec, s[4:5]
	s_waitcnt lgkmcnt(0)
	s_barrier
	s_trap 2
	ds_read_b32 v0, v0
	s_waitcnt lgkmcnt(0)
	v_cmp_gt_i32_e32 vcc, 1, v0
	s_cbranch_vccnz .LBB5_13
; %bb.6:
	s_mov_b32 s74, 0
	s_mov_b64 s[70:71], src_shared_base
	v_mov_b32_e32 v42, 6
	s_branch .LBB5_8
.LBB5_7:                                ;   in Loop: Header=BB5_8 Depth=1
	s_or_b64 exec, exec, s[72:73]
	s_trap 2
	ds_read_b32 v0, v0
	s_add_i32 s74, s74, 1
	s_waitcnt lgkmcnt(0)
	v_cmp_lt_i32_e32 vcc, s74, v0
	s_cbranch_vccz .LBB5_13
.LBB5_8:                                ; =>This Inner Loop Header: Depth=1
	s_trap 2
	ds_read_b32 v0, v0
	s_cmp_eq_u32 s74, 0
	s_cbranch_scc1 .LBB5_11
; %bb.9:                                ;   in Loop: Header=BB5_8 Depth=1
	s_trap 2
	s_waitcnt lgkmcnt(0)
	ds_read_b32 v1, v0
	s_waitcnt lgkmcnt(0)
	v_xor_b32_e32 v1, v1, v0
	v_and_b32_e32 v1, 0xff0000, v1
	v_cmp_eq_u32_e32 vcc, 0, v1
	s_cbranch_vccnz .LBB5_11
; %bb.10:                               ;   in Loop: Header=BB5_8 Depth=1
	s_barrier
	ds_read_b32 v0, v0
.LBB5_11:                               ;   in Loop: Header=BB5_8 Depth=1
	s_waitcnt lgkmcnt(0)
	v_lshlrev_b32_sdwa v1, v42, v0 dst_sel:DWORD dst_unused:UNUSED_PAD src0_sel:DWORD src1_sel:BYTE_2
	v_cmp_lt_u32_e32 vcc, v41, v1
	s_and_saveexec_b64 s[72:73], vcc
	s_cbranch_execz .LBB5_7
; %bb.12:                               ;   in Loop: Header=BB5_8 Depth=1
	s_mov_b64 s[8:9], s[68:69]
	s_mov_b32 s12, s67
	v_mov_b32_e32 v31, v40
	v_mov_b32_e32 v0, v41
	;; [unrolled: 1-line block ×3, first 2 shown]
	s_getpc_b64 s[4:5]
	s_add_u32 s4, s4, _ZN12_GLOBAL__N_17runRingI6__half13FuncPreMulSumIS1_E11ProtoSimpleILi1ELi1ELi0ELi2ELi0ELi0EELi0ELi2ELi0EEEviiP15ncclDevWorkColl@rel32@lo+4
	s_addc_u32 s5, s5, _ZN12_GLOBAL__N_17runRingI6__half13FuncPreMulSumIS1_E11ProtoSimpleILi1ELi1ELi0ELi2ELi0ELi0EELi0ELi2ELi0EEEviiP15ncclDevWorkColl@rel32@hi+12
	s_swappc_b64 s[30:31], s[4:5]
	s_branch .LBB5_7
.LBB5_13:
	buffer_load_dword v63, off, s[0:3], s33 ; 4-byte Folded Reload
	buffer_load_dword v42, off, s[0:3], s33 offset:4 ; 4-byte Folded Reload
	buffer_load_dword v41, off, s[0:3], s33 offset:8 ; 4-byte Folded Reload
	;; [unrolled: 1-line block ×3, first 2 shown]
	v_readlane_b32 s30, v43, 41
	v_readlane_b32 s31, v43, 42
	;; [unrolled: 1-line block ×44, first 2 shown]
	s_or_saveexec_b64 s[6:7], -1
	buffer_load_dword v43, off, s[0:3], s33 offset:16 ; 4-byte Folded Reload
	s_mov_b64 exec, s[6:7]
	s_addk_i32 s32, 0xf800
	s_mov_b32 s33, s4
	s_waitcnt vmcnt(0)
	s_setpc_b64 s[30:31]
.Lfunc_end5:
	.size	_Z50ncclDevFunc_Reduce_RING_SIMPLE_PreMulSum_f16_0_0_2v, .Lfunc_end5-_Z50ncclDevFunc_Reduce_RING_SIMPLE_PreMulSum_f16_0_0_2v
                                        ; -- End function
	.section	.AMDGPU.csdata,"",@progbits
; Function info:
; codeLenInByte = 1296
; NumSgprs: 79
; NumVgprs: 64
; NumAgprs: 32
; TotalNumVgprs: 96
; ScratchSize: 144
; MemoryBound: 0
	.text
	.p2align	2                               ; -- Begin function _ZN12_GLOBAL__N_17runRingI6__half13FuncPreMulSumIS1_E11ProtoSimpleILi1ELi1ELi0ELi4ELi0ELi0EELi0ELi4ELi0EEEviiP15ncclDevWorkColl
	.type	_ZN12_GLOBAL__N_17runRingI6__half13FuncPreMulSumIS1_E11ProtoSimpleILi1ELi1ELi0ELi4ELi0ELi0EELi0ELi4ELi0EEEviiP15ncclDevWorkColl,@function
_ZN12_GLOBAL__N_17runRingI6__half13FuncPreMulSumIS1_E11ProtoSimpleILi1ELi1ELi0ELi4ELi0ELi0EELi0ELi4ELi0EEEviiP15ncclDevWorkColl: ; @_ZN12_GLOBAL__N_17runRingI6__half13FuncPreMulSumIS1_E11ProtoSimpleILi1ELi1ELi0ELi4ELi0ELi0EELi0ELi4ELi0EEEviiP15ncclDevWorkColl
; %bb.0:
	s_waitcnt vmcnt(0) expcnt(0) lgkmcnt(0)
	s_mov_b32 s4, s33
	s_mov_b32 s33, s32
	s_or_saveexec_b64 s[6:7], -1
	buffer_store_dword v63, off, s[0:3], s33 offset:52 ; 4-byte Folded Spill
	s_mov_b64 exec, s[6:7]
	v_writelane_b32 v63, s4, 42
	v_accvgpr_write_b32 a30, v40            ;  Reload Reuse
	s_addk_i32 s32, 0x1000
	v_accvgpr_write_b32 a31, v41            ;  Reload Reuse
	buffer_store_dword v42, off, s[0:3], s33 offset:48 ; 4-byte Folded Spill
	buffer_store_dword v43, off, s[0:3], s33 offset:44 ; 4-byte Folded Spill
	;; [unrolled: 1-line block ×12, first 2 shown]
	buffer_store_dword v62, off, s[0:3], s33 ; 4-byte Folded Spill
	v_writelane_b32 v63, s34, 0
	v_writelane_b32 v63, s35, 1
	;; [unrolled: 1-line block ×42, first 2 shown]
	v_mov_b32_e32 v24, v1
	s_trap 2
	ds_read_b64 v[14:15], v0
	ds_read_b32 v1, v0
	v_mov_b32_e32 v60, v0
	flat_load_ushort v17, v[2:3] offset:8
	flat_load_dwordx2 v[8:9], v[2:3]
                                        ; implicit-def: $vgpr18_vgpr19
                                        ; implicit-def: $vgpr56_vgpr57
                                        ; implicit-def: $vgpr48_vgpr49
	s_waitcnt lgkmcnt(0)
	v_ashrrev_i32_e32 v5, 31, v15
	v_mov_b32_e32 v4, v15
	v_lshlrev_b64 v[4:5], 2, v[4:5]
	v_add_co_u32_e32 v0, vcc, v14, v4
	v_addc_co_u32_e32 v5, vcc, v15, v5, vcc
	v_add_co_u32_e32 v4, vcc, -4, v0
	v_addc_co_u32_e32 v5, vcc, -1, v5, vcc
	flat_load_dword v15, v[4:5]
	s_waitcnt vmcnt(0)
	v_mov_b32_e32 v16, v9
	v_cmp_ne_u32_sdwa s[4:5], v8, v1 src0_sel:BYTE_0 src1_sel:DWORD
	s_and_saveexec_b64 s[6:7], s[4:5]
	s_xor_b64 s[4:5], exec, s[6:7]
	s_cbranch_execz .LBB6_6
; %bb.1:
	v_not_b32_sdwa v0, v8 dst_sel:DWORD dst_unused:UNUSED_PAD src0_sel:BYTE_0
	v_cmp_ne_u32_sdwa s[6:7], v8, v1 src0_sel:BYTE_1 src1_sel:DWORD
                                        ; implicit-def: $vgpr18_vgpr19
                                        ; implicit-def: $vgpr56_vgpr57
                                        ; implicit-def: $vgpr48_vgpr49
	s_and_saveexec_b64 s[10:11], s[6:7]
	s_xor_b64 s[6:7], exec, s[10:11]
	s_cbranch_execz .LBB6_3
; %bb.2:
	flat_load_dwordx4 v[4:7], v[2:3] offset:72
	flat_load_dwordx2 v[8:9], v[2:3] offset:96
	v_add_u32_e32 v0, v1, v0
	v_ashrrev_i32_e32 v1, 31, v0
	s_waitcnt vmcnt(0) lgkmcnt(0)
	v_mul_lo_u32 v1, v6, v1
	v_mad_u64_u32 v[48:49], s[10:11], v6, v0, v[4:5]
	v_mul_lo_u32 v0, v7, v0
	v_lshrrev_b64 v[18:19], 13, v[8:9]
	v_add3_u32 v49, v0, v49, v1
	v_pk_mov_b32 v[56:57], v[6:7], v[6:7] op_sel:[0,1]
                                        ; implicit-def: $vgpr8
                                        ; implicit-def: $vgpr0
.LBB6_3:
	s_andn2_saveexec_b64 s[6:7], s[6:7]
	s_cbranch_execz .LBB6_5
; %bb.4:
	flat_load_dwordx4 v[10:13], v[2:3] offset:72
	flat_load_dwordx4 v[56:59], v[2:3] offset:88
	v_add_u32_sdwa v0, v8, v0 dst_sel:DWORD dst_unused:UNUSED_PAD src0_sel:BYTE_1 src1_sel:DWORD
	v_ashrrev_i32_e32 v1, 31, v0
	s_waitcnt vmcnt(0) lgkmcnt(0)
	v_mul_lo_u32 v1, v12, v1
	v_mad_u64_u32 v[48:49], s[10:11], v12, v0, v[10:11]
	v_mul_lo_u32 v0, v13, v0
	v_add3_u32 v49, v0, v49, v1
	v_lshrrev_b32_e32 v18, 2, v59
.LBB6_5:
	s_or_b64 exec, exec, s[6:7]
.LBB6_6:
	s_andn2_saveexec_b64 s[4:5], s[4:5]
	s_cbranch_execz .LBB6_8
; %bb.7:
	flat_load_dwordx2 v[0:1], v[2:3] offset:96
	flat_load_dwordx2 v[56:57], v[2:3] offset:72
	v_pk_mov_b32 v[48:49], 0, 0
	s_waitcnt vmcnt(0) lgkmcnt(0)
	v_lshlrev_b64 v[18:19], 8, v[0:1]
.LBB6_8:
	s_or_b64 exec, exec, s[4:5]
	s_trap 2
	ds_read_b64 v[6:7], v0
	s_waitcnt lgkmcnt(0)
	v_cmp_ne_u32_e32 vcc, -1, v6
	v_cndmask_b32_e64 v1, 0, 1, vcc
	v_cmp_ne_u32_e32 vcc, -1, v7
	v_addc_co_u32_e64 v0, s[4:5], 0, v1, vcc
	v_lshlrev_b32_e32 v6, 1, v0
	v_cmp_le_i32_e64 s[4:5], v6, v24
	s_and_saveexec_b64 s[6:7], s[4:5]
	s_xor_b64 s[24:25], exec, s[6:7]
	s_cbranch_execz .LBB6_604
; %bb.9:
	flat_load_dwordx4 v[10:13], v[2:3] offset:16
	flat_load_dwordx2 v[20:21], v[2:3] offset:104
	s_trap 2
	s_load_dword s4, s[8:9], 0x0
	v_mov_b32_e32 v2, 0
	s_waitcnt lgkmcnt(0)
	s_cmp_lt_u32 s12, s4
	s_cselect_b32 s4, 12, 18
	s_add_u32 s4, s8, s4
	s_addc_u32 s5, s9, 0
	global_load_ushort v19, v2, s[4:5]
	ds_read_b32 v2, v0
	v_cmp_ge_i32_e64 s[4:5], v60, v1
	s_waitcnt lgkmcnt(0)
	v_readfirstlane_b32 s12, v2
	v_mov_b32_e32 v2, 4
	s_and_saveexec_b64 s[6:7], s[4:5]
	s_cbranch_execz .LBB6_19
; %bb.10:
	v_cmp_le_u32_e64 s[4:5], v0, v60
                                        ; implicit-def: $vgpr2
	s_and_saveexec_b64 s[10:11], s[4:5]
	s_xor_b64 s[4:5], exec, s[10:11]
	s_cbranch_execz .LBB6_16
; %bb.11:
	v_cndmask_b32_e64 v2, 0, 1, vcc
	v_sub_u32_e32 v2, v24, v2
	v_cmp_ge_u32_e32 vcc, v60, v2
                                        ; implicit-def: $sgpr13
	s_and_saveexec_b64 s[10:11], vcc
	s_xor_b64 s[10:11], exec, s[10:11]
; %bb.12:
	s_mov_b32 s13, 16
                                        ; implicit-def: $vgpr0
; %bb.13:
	s_or_saveexec_b64 s[10:11], s[10:11]
	v_mov_b32_e32 v2, s13
	s_xor_b64 exec, exec, s[10:11]
; %bb.14:
	v_sub_u32_e32 v0, v24, v0
	v_cmp_ge_i32_e32 vcc, v60, v0
	v_cndmask_b32_e64 v0, 0, 1, vcc
	v_lshlrev_b32_e32 v2, 5, v0
; %bb.15:
	s_or_b64 exec, exec, s[10:11]
.LBB6_16:
	s_andn2_saveexec_b64 s[4:5], s[4:5]
; %bb.17:
	v_mov_b32_e32 v2, 8
; %bb.18:
	s_or_b64 exec, exec, s[4:5]
.LBB6_19:
	s_or_b64 exec, exec, s[6:7]
	v_and_b32_e32 v0, 36, v2
	v_cmp_ne_u32_e32 vcc, 0, v0
	v_mov_b32_e32 v22, -1
	s_and_saveexec_b64 s[4:5], vcc
	s_cbranch_execz .LBB6_21
; %bb.20:
	s_trap 2
	ds_read_b32 v22, v0
.LBB6_21:
	s_or_b64 exec, exec, s[4:5]
	v_and_b32_e32 v0, 24, v2
	v_cmp_ne_u32_e64 s[4:5], 0, v0
	s_and_saveexec_b64 s[6:7], s[4:5]
	s_cbranch_execz .LBB6_23
; %bb.22:
	s_trap 2
	s_waitcnt lgkmcnt(0)
	ds_read_b32 v22, v0
.LBB6_23:
	s_or_b64 exec, exec, s[6:7]
	v_lshrrev_b64 v[6:7], 31, v[16:17]
	v_pk_mov_b32 v[26:27], 0, 0
	v_and_b32_e32 v3, 3, v6
	s_waitcnt lgkmcnt(0)
	v_ashrrev_i32_e32 v23, 31, v22
	v_pk_mov_b32 v[6:7], v[26:27], v[26:27] op_sel:[0,1]
                                        ; implicit-def: $agpr6_agpr7
                                        ; implicit-def: $vgpr46
                                        ; implicit-def: $vgpr34_vgpr35
                                        ; implicit-def: $vgpr58_vgpr59
                                        ; implicit-def: $vgpr28_vgpr29
	s_and_saveexec_b64 s[4:5], vcc
	s_cbranch_execz .LBB6_33
; %bb.24:
	s_trap 2
	ds_read_b64 v[6:7], v0
	v_lshlrev_b64 v[8:9], 3, v[22:23]
	v_and_b32_e32 v0, 0xffff, v3
	s_movk_i32 s6, 0xa8
                                        ; implicit-def: $agpr6_agpr7
	s_waitcnt lgkmcnt(0)
	v_add_co_u32_e32 v6, vcc, v6, v8
	v_addc_co_u32_e32 v7, vcc, v7, v9, vcc
	flat_load_dwordx2 v[6:7], v[6:7]
	s_waitcnt vmcnt(0) lgkmcnt(0)
	v_mad_u64_u32 v[6:7], s[6:7], v0, s6, v[6:7]
	flat_load_dword v0, v[6:7] offset:640
	v_add_co_u32_e32 v26, vcc, 0x1f8, v6
	v_addc_co_u32_e32 v27, vcc, 0, v7, vcc
	s_waitcnt vmcnt(0) lgkmcnt(0)
	v_cmp_eq_u32_e32 vcc, 1, v0
	s_and_saveexec_b64 s[6:7], vcc
	s_cbranch_execz .LBB6_26
; %bb.25:
	flat_load_dwordx2 v[4:5], v[26:27] offset:144
	v_or_b32_e32 v2, 0x2000, v2
	s_waitcnt vmcnt(0) lgkmcnt(0)
	flat_load_dwordx2 v[6:7], v[4:5]
	s_trap 2
	v_accvgpr_write_b32 a7, v5
	v_accvgpr_write_b32 a6, v4
	s_waitcnt vmcnt(0) lgkmcnt(0)
	ds_write_b64 v0, v[6:7]
	flat_load_dwordx2 v[6:7], v[4:5] offset:8
	s_waitcnt vmcnt(0) lgkmcnt(0)
	ds_write_b64 v0, v[6:7]
	flat_load_dwordx2 v[6:7], v[4:5] offset:16
	s_waitcnt vmcnt(0) lgkmcnt(0)
	ds_write_b64 v0, v[6:7]
.LBB6_26:
	s_or_b64 exec, exec, s[6:7]
	flat_load_dwordx2 v[8:9], v[26:27] offset:104
	v_and_b32_e32 v0, 32, v2
	v_cmp_ne_u32_e32 vcc, 0, v0
                                        ; implicit-def: $vgpr28_vgpr29
	s_and_saveexec_b64 s[6:7], vcc
	s_cbranch_execz .LBB6_28
; %bb.27:
	flat_load_dwordx2 v[28:29], v[26:27] offset:56
	s_waitcnt vmcnt(0) lgkmcnt(0)
	flat_store_dwordx2 v[28:29], v[8:9]
.LBB6_28:
	s_or_b64 exec, exec, s[6:7]
	v_and_b32_e32 v0, 4, v2
	v_cmp_ne_u32_e32 vcc, 0, v0
	v_pk_mov_b32 v[6:7], 0, 0
                                        ; implicit-def: $vgpr46
                                        ; implicit-def: $vgpr34_vgpr35
                                        ; implicit-def: $vgpr58_vgpr59
	s_and_saveexec_b64 s[6:7], vcc
	s_cbranch_execz .LBB6_32
; %bb.29:
	v_and_b32_e32 v0, 0x800, v2
	v_cmp_eq_u32_e32 vcc, 0, v0
	s_and_saveexec_b64 s[10:11], vcc
	s_cbranch_execz .LBB6_31
; %bb.30:
	s_trap 2
	ds_write_b64 v0, v[26:27]
.LBB6_31:
	s_or_b64 exec, exec, s[10:11]
	flat_load_dwordx2 v[28:29], v[26:27] offset:48
	v_or_b32_e32 v17, 0x100, v2
	s_waitcnt vmcnt(0) lgkmcnt(0)
	flat_load_dwordx2 v[34:35], v[28:29] glc
	flat_load_dword v0, v[26:27] offset:72
	flat_load_dwordx2 v[6:7], v[26:27] offset:96
	flat_load_dwordx2 v[58:59], v[26:27] offset:16
	s_waitcnt vmcnt(0) lgkmcnt(0)
	v_ashrrev_i32_e32 v46, 1, v0
	v_cmp_eq_u64_e32 vcc, 0, v[6:7]
	v_cndmask_b32_e32 v2, v17, v2, vcc
.LBB6_32:
	s_or_b64 exec, exec, s[6:7]
.LBB6_33:
	s_or_b64 exec, exec, s[4:5]
	v_and_b32_e32 v0, 24, v2
	v_cmp_ne_u32_e32 vcc, 0, v0
                                        ; implicit-def: $vgpr32_vgpr33
	s_and_saveexec_b64 s[4:5], vcc
	s_cbranch_execz .LBB6_41
; %bb.34:
	s_trap 2
	ds_read_b64 v[6:7], v0
	s_waitcnt vmcnt(0) lgkmcnt(0)
	v_lshlrev_b64 v[8:9], 3, v[22:23]
	v_and_b32_e32 v0, 0xffff, v3
	s_movk_i32 s6, 0xa8
                                        ; implicit-def: $vgpr32_vgpr33
	v_add_co_u32_e32 v6, vcc, v6, v8
	v_addc_co_u32_e32 v7, vcc, v7, v9, vcc
	flat_load_dwordx2 v[6:7], v[6:7]
	s_waitcnt vmcnt(0) lgkmcnt(0)
	v_mad_u64_u32 v[26:27], s[6:7], v0, s6, v[6:7]
	flat_load_dwordx4 v[6:9], v[26:27] offset:96
	v_or_b32_e32 v0, 0x100, v2
	s_waitcnt vmcnt(0) lgkmcnt(0)
	v_cmp_eq_u64_e32 vcc, 0, v[6:7]
	v_cndmask_b32_e32 v2, v0, v2, vcc
	v_and_b32_e32 v0, 16, v2
	v_cmp_ne_u32_e32 vcc, 0, v0
	s_and_saveexec_b64 s[6:7], vcc
	s_cbranch_execz .LBB6_36
; %bb.35:
	flat_load_dwordx2 v[32:33], v[26:27] offset:120
	flat_load_dwordx2 v[28:29], v[26:27] offset:48
	;; [unrolled: 1-line block ×3, first 2 shown]
.LBB6_36:
	s_or_b64 exec, exec, s[6:7]
	v_and_b32_e32 v0, 8, v2
	v_cmp_ne_u32_e32 vcc, 0, v0
	s_and_saveexec_b64 s[6:7], vcc
	s_cbranch_execz .LBB6_40
; %bb.37:
	v_and_b32_e32 v0, 0x800, v2
	v_cmp_eq_u32_e32 vcc, 0, v0
	s_and_saveexec_b64 s[10:11], vcc
	s_cbranch_execz .LBB6_39
; %bb.38:
	s_trap 2
	ds_write_b64 v0, v[26:27]
.LBB6_39:
	s_or_b64 exec, exec, s[10:11]
	s_waitcnt vmcnt(0) lgkmcnt(0)
	flat_load_dwordx2 v[28:29], v[26:27] offset:56
	s_waitcnt vmcnt(0) lgkmcnt(0)
	flat_load_dwordx2 v[34:35], v[28:29] glc
	flat_load_dword v0, v[26:27] offset:72
	flat_load_dwordx2 v[58:59], v[26:27] offset:16
	s_waitcnt vmcnt(0) lgkmcnt(0)
	v_ashrrev_i32_e32 v46, 1, v0
.LBB6_40:
	s_or_b64 exec, exec, s[6:7]
.LBB6_41:
	s_or_b64 exec, exec, s[4:5]
	v_cmp_eq_u32_e64 s[4:5], 0, v60
	s_and_saveexec_b64 s[6:7], s[4:5]
	s_cbranch_execz .LBB6_43
; %bb.42:
	s_waitcnt vmcnt(0)
	ds_write2_b64 v0, v[12:13], v[10:11] offset1:1
	v_mov_b32_e32 v10, 0
	v_mov_b32_e32 v11, v10
	s_trap 2
	ds_write_b64 v0, v[10:11]
	ds_write_b64 v0, v[20:21]
.LBB6_43:
	s_or_b64 exec, exec, s[6:7]
	s_ashr_i32 s6, s12, 31
	s_lshr_b32 s6, s6, 29
	s_add_i32 s12, s12, s6
	v_bfe_u32 v0, v16, 1, 30
	v_and_b32_e32 v22, 0x1fffff00, v18
	v_mov_b32_e32 v23, 0
	s_ashr_i32 s62, s12, 4
	v_cmp_ne_u32_e32 vcc, v15, v0
                                        ; implicit-def: $vgpr36_vgpr37
	s_and_saveexec_b64 s[6:7], vcc
	s_xor_b64 s[26:27], exec, s[6:7]
	s_cbranch_execz .LBB6_395
; %bb.44:
	v_cmp_ne_u32_e32 vcc, v14, v0
	v_cmp_ne_u64_e64 s[6:7], 0, v[56:57]
                                        ; implicit-def: $vgpr36_vgpr37
	s_and_saveexec_b64 s[10:11], vcc
	s_xor_b64 s[28:29], exec, s[10:11]
	s_cbranch_execz .LBB6_225
; %bb.45:
	v_pk_mov_b32 v[36:37], 0, 0
	s_and_saveexec_b64 s[30:31], s[6:7]
	s_cbranch_execz .LBB6_224
; %bb.46:
	v_and_b32_e32 v0, 63, v31
	v_cmp_eq_u32_e64 s[14:15], 0, v0
	v_ashrrev_i32_e32 v0, 31, v60
	v_lshrrev_b32_e32 v0, 26, v0
	v_add_u32_e32 v0, v60, v0
	v_accvgpr_write_b32 a1, v31
	v_and_b32_e32 v3, 0xffffffc0, v0
	v_ashrrev_i32_e32 v31, 6, v0
	v_sub_u32_e32 v3, v60, v3
	v_lshlrev_b32_e32 v0, 11, v31
	v_lshl_add_u32 v0, v3, 4, v0
	v_lshrrev_b32_e32 v52, 6, v24
	v_cmp_le_i32_e64 s[16:17], v3, v1
	v_cmp_lt_i32_e64 s[18:19], v3, v1
	v_accvgpr_write_b32 a20, v0
	v_ashrrev_i32_e32 v1, 31, v0
	v_mov_b32_e32 v0, 0xfffff800
	v_lshl_add_u32 v0, v52, 11, v0
	s_movk_i32 s20, 0x800
	v_accvgpr_write_b32 a21, v1
	v_ashrrev_i32_e32 v1, 31, v0
	v_add_co_u32_e64 v41, s[20:21], s20, v0
	v_addc_co_u32_e64 v40, s[20:21], 0, v1, s[20:21]
	v_lshlrev_b32_e32 v54, 10, v52
	v_add_u32_e32 v0, 0xfffffc00, v54
	s_movk_i32 s20, 0x400
	v_ashrrev_i32_e32 v1, 31, v0
	v_add_co_u32_e64 v53, s[20:21], s20, v0
	v_accvgpr_write_b32 a19, v3
	v_addc_co_u32_e64 v3, s[20:21], 0, v1, s[20:21]
	v_lshlrev_b32_e32 v55, 7, v52
	v_add_u32_e32 v0, 0xffffff80, v55
	s_movk_i32 s20, 0x80
	s_lshr_b32 s10, s62, 27
	v_ashrrev_i32_e32 v1, 31, v0
	v_add_co_u32_e64 v47, s[20:21], s20, v0
	s_waitcnt vmcnt(0)
	v_lshlrev_b64 v[20:21], 1, v[48:49]
	v_accvgpr_write_b32 a8, v26
	s_add_i32 s10, s62, s10
	v_ashrrev_i32_e32 v51, 31, v46
	v_cmp_eq_u32_e32 vcc, 64, v24
	v_addc_co_u32_e64 v30, s[20:21], 0, v1, s[20:21]
	v_pk_mov_b32 v[42:43], 0, 0
	v_accvgpr_write_b32 a4, v56
	s_waitcnt lgkmcnt(0)
	v_accvgpr_write_b32 a12, v58
	v_accvgpr_write_b32 a14, v32
	;; [unrolled: 1-line block ×5, first 2 shown]
	s_ashr_i32 s63, s10, 5
	v_cmp_ge_i32_e64 s[10:11], v60, v24
	v_cmp_ne_u32_e64 s[12:13], 64, v24
	v_accvgpr_write_b32 a2, v19
	v_cmp_ne_u32_sdwa s[34:35], v19, v24 src0_sel:WORD_0 src1_sel:DWORD
	v_accvgpr_write_b32 a0, v24
	v_mov_b32_e32 v38, 0
	s_movk_i32 s64, 0xff80
	s_mov_b64 s[36:37], 0
	v_cmp_eq_u64_e64 s[20:21], 0, v[32:33]
	s_movk_i32 s65, 0x270e
	s_movk_i32 s66, 0x108
	v_mov_b32_e32 v61, 1
	s_xor_b64 s[38:39], vcc, -1
	s_movk_i32 s67, 0xfc80
	s_movk_i32 s68, 0xfd00
	;; [unrolled: 1-line block ×6, first 2 shown]
	v_pk_mov_b32 v[36:37], v[42:43], v[42:43] op_sel:[0,1]
	v_accvgpr_write_b32 a3, v60
	v_accvgpr_write_b32 a5, v57
	;; [unrolled: 1-line block ×10, first 2 shown]
	s_trap 2
	s_branch .LBB6_49
.LBB6_47:                               ;   in Loop: Header=BB6_49 Depth=1
	s_or_b64 exec, exec, s[22:23]
.LBB6_48:                               ;   in Loop: Header=BB6_49 Depth=1
	s_or_b64 exec, exec, s[42:43]
	v_add_co_u32_e32 v42, vcc, v42, v22
	v_addc_co_u32_e32 v43, vcc, 0, v43, vcc
	v_cmp_ge_u64_e32 vcc, v[42:43], v[56:57]
	s_or_b64 s[36:37], vcc, s[36:37]
	s_andn2_b64 exec, exec, s[36:37]
	s_cbranch_execz .LBB6_223
.LBB6_49:                               ; =>This Loop Header: Depth=1
                                        ;     Child Loop BB6_58 Depth 2
                                        ;     Child Loop BB6_86 Depth 2
	;; [unrolled: 1-line block ×10, first 2 shown]
	v_sub_co_u32_e32 v0, vcc, v56, v42
	v_subb_co_u32_e32 v1, vcc, v57, v43, vcc
	v_cmp_lt_u64_e32 vcc, v[22:23], v[0:1]
	v_cndmask_b32_e64 v45, v1, 0, vcc
	v_cndmask_b32_e32 v44, v0, v22, vcc
	v_add_u32_e32 v0, 15, v44
	v_cmp_eq_u64_e32 vcc, 0, v[44:45]
	v_and_b32_e32 v0, 0x3ffffff0, v0
	s_or_b64 s[40:41], s[10:11], vcc
	v_max_i32_e32 v1, s63, v0
	s_xor_b64 s[22:23], s[40:41], -1
	v_mov_b32_e32 v11, 0
	s_and_saveexec_b64 s[42:43], s[22:23]
	s_cbranch_execz .LBB6_171
; %bb.50:                               ;   in Loop: Header=BB6_49 Depth=1
	s_and_saveexec_b64 s[22:23], s[4:5]
	s_cbranch_execz .LBB6_52
; %bb.51:                               ;   in Loop: Header=BB6_49 Depth=1
	s_trap 2
	ds_read_b64 v[10:11], v0
	v_mov_b32_e32 v39, v38
	s_waitcnt lgkmcnt(0)
	v_add_co_u32_e32 v0, vcc, v10, v20
	v_addc_co_u32_e32 v4, vcc, v11, v21, vcc
	v_lshlrev_b64 v[10:11], 1, v[42:43]
	v_add_co_u32_e32 v10, vcc, v0, v10
	v_addc_co_u32_e32 v11, vcc, v4, v11, vcc
	ds_write_b64 v0, v[10:11]
	ds_write_b64 v0, v[38:39]
.LBB6_52:                               ;   in Loop: Header=BB6_49 Depth=1
	s_or_b64 exec, exec, s[22:23]
	v_and_b32_e32 v0, 12, v2
	v_cmp_ne_u32_e32 vcc, 0, v0
	s_mov_b64 s[44:45], -1
	s_and_saveexec_b64 s[22:23], vcc
	s_cbranch_execz .LBB6_64
; %bb.53:                               ;   in Loop: Header=BB6_49 Depth=1
	v_and_b32_e32 v10, 8, v2
	v_add_co_u32_e32 v14, vcc, v34, v10
	v_addc_co_u32_e32 v15, vcc, 0, v35, vcc
	v_add_co_u32_e32 v12, vcc, 1, v8
	v_addc_co_u32_e32 v13, vcc, 0, v9, vcc
	v_cmp_lt_u64_e32 vcc, v[14:15], v[12:13]
	v_mov_b32_e32 v0, 1
	s_and_saveexec_b64 s[44:45], vcc
	s_cbranch_execz .LBB6_63
; %bb.54:                               ;   in Loop: Header=BB6_49 Depth=1
	s_mov_b64 s[46:47], 0
	v_mov_b32_e32 v0, 0
                                        ; implicit-def: $sgpr48_sgpr49
	s_branch .LBB6_58
.LBB6_55:                               ;   in Loop: Header=BB6_58 Depth=2
	s_or_b64 exec, exec, s[56:57]
	v_mov_b32_e32 v11, 0
	s_orn2_b64 s[54:55], s[54:55], exec
.LBB6_56:                               ;   in Loop: Header=BB6_58 Depth=2
	s_or_b64 exec, exec, s[52:53]
	s_andn2_b64 vcc, s[48:49], exec
	s_and_b64 s[48:49], s[54:55], exec
	s_or_b64 s[48:49], vcc, s[48:49]
	v_mov_b32_e32 v0, v11
.LBB6_57:                               ;   in Loop: Header=BB6_58 Depth=2
	s_or_b64 exec, exec, s[50:51]
	s_waitcnt vmcnt(0) lgkmcnt(0)
	v_add_co_u32_e32 v14, vcc, v34, v10
	v_addc_co_u32_e32 v15, vcc, 0, v35, vcc
	v_cmp_ge_u64_e32 vcc, v[14:15], v[12:13]
	s_xor_b64 s[50:51], s[48:49], -1
	s_or_b64 vcc, s[50:51], vcc
	s_and_b64 vcc, exec, vcc
	s_or_b64 s[46:47], vcc, s[46:47]
	s_andn2_b64 exec, exec, s[46:47]
	s_cbranch_execz .LBB6_62
.LBB6_58:                               ;   Parent Loop BB6_49 Depth=1
                                        ; =>  This Inner Loop Header: Depth=2
	s_sleep 1
	flat_load_dwordx2 v[34:35], v[28:29] glc
	v_and_b32_e32 v4, 64, v2
	v_cmp_eq_u32_e32 vcc, 0, v4
	s_andn2_b64 s[48:49], s[48:49], exec
	s_and_saveexec_b64 s[50:51], vcc
	s_cbranch_execz .LBB6_57
; %bb.59:                               ;   in Loop: Header=BB6_58 Depth=2
	v_add_u32_e32 v11, 1, v0
	v_cmp_lt_i32_e32 vcc, s65, v0
	s_mov_b64 s[54:55], -1
	s_and_saveexec_b64 s[52:53], vcc
	s_cbranch_execz .LBB6_56
; %bb.60:                               ;   in Loop: Header=BB6_58 Depth=2
	s_trap 2
	ds_read_b64 v[14:15], v0
	s_waitcnt vmcnt(0) lgkmcnt(0)
	flat_load_dword v0, v[14:15] glc
	s_waitcnt vmcnt(0) lgkmcnt(0)
	buffer_invl2
	buffer_wbinvl1_vol
	v_cmp_ne_u32_e32 vcc, 0, v0
	s_and_saveexec_b64 s[56:57], vcc
	s_cbranch_execz .LBB6_55
; %bb.61:                               ;   in Loop: Header=BB6_58 Depth=2
	v_or_b32_e32 v2, 64, v2
	s_xor_b64 s[54:55], exec, -1
	ds_write_b32 v0, v0
	s_trap 2
	s_branch .LBB6_55
.LBB6_62:                               ;   in Loop: Header=BB6_49 Depth=1
	s_or_b64 exec, exec, s[46:47]
	v_and_b32_e32 v0, 12, v2
.LBB6_63:                               ;   in Loop: Header=BB6_49 Depth=1
	s_or_b64 exec, exec, s[44:45]
	v_cmp_eq_u32_e32 vcc, 0, v0
	s_orn2_b64 s[44:45], vcc, exec
	;;#ASMSTART
	s_wakeup
	;;#ASMEND
.LBB6_64:                               ;   in Loop: Header=BB6_49 Depth=1
	s_or_b64 exec, exec, s[22:23]
	s_xor_b64 s[22:23], s[44:45], -1
	v_min_u32_e32 v1, v1, v44
	s_and_saveexec_b64 s[44:45], s[22:23]
	s_cbranch_execz .LBB6_78
; %bb.65:                               ;   in Loop: Header=BB6_49 Depth=1
	v_and_b32_e32 v0, 0x108, v2
	v_cmp_ne_u32_e32 vcc, s66, v0
	v_and_b32_e32 v10, 7, v8
	s_and_saveexec_b64 s[22:23], vcc
	s_xor_b64 s[22:23], exec, s[22:23]
                                        ; implicit-def: $vgpr12_vgpr13
; %bb.66:                               ;   in Loop: Header=BB6_49 Depth=1
	v_mov_b32_e32 v13, v38
; %bb.67:                               ;   in Loop: Header=BB6_49 Depth=1
	s_andn2_saveexec_b64 s[22:23], s[22:23]
	s_cbranch_execz .LBB6_69
; %bb.68:                               ;   in Loop: Header=BB6_49 Depth=1
	v_mov_b32_e32 v13, v38
	v_mad_u64_u32 v[14:15], vcc, v10, 24, v[6:7]
	v_lshlrev_b32_e32 v16, 1, v1
	v_mov_b32_e32 v17, v38
	flat_store_dwordx2 v[14:15], v[16:17] offset:8
.LBB6_69:                               ;   in Loop: Header=BB6_49 Depth=1
	s_or_b64 exec, exec, s[22:23]
	v_and_b32_e32 v0, 0x100, v2
	v_cmp_ne_u32_e32 vcc, 0, v0
	s_mov_b64 s[22:23], -1
                                        ; implicit-def: $vgpr14_vgpr15
	s_and_saveexec_b64 s[46:47], vcc
	s_cbranch_execz .LBB6_73
; %bb.70:                               ;   in Loop: Header=BB6_49 Depth=1
	v_mad_u64_u32 v[16:17], s[22:23], v10, 24, v[6:7]
	v_mov_b32_e32 v0, v17
	v_mad_u64_u32 v[14:15], s[22:23], v13, 24, v[0:1]
	v_mov_b32_e32 v17, v14
	flat_load_dword v0, v[16:17]
                                        ; implicit-def: $vgpr14_vgpr15
	s_waitcnt vmcnt(0) lgkmcnt(0)
	v_cmp_ne_u32_e32 vcc, 1, v0
	v_cmp_eq_u32_e64 s[22:23], 1, v0
	s_and_saveexec_b64 s[48:49], s[22:23]
	s_cbranch_execz .LBB6_72
; %bb.71:                               ;   in Loop: Header=BB6_49 Depth=1
	flat_load_dword v14, v[16:17] offset:4 glc
	s_waitcnt vmcnt(0) lgkmcnt(0)
	v_ashrrev_i32_e32 v15, 31, v14
	v_lshrrev_b64 v[14:15], 1, v[14:15]
.LBB6_72:                               ;   in Loop: Header=BB6_49 Depth=1
	s_or_b64 exec, exec, s[48:49]
	s_orn2_b64 s[22:23], vcc, exec
.LBB6_73:                               ;   in Loop: Header=BB6_49 Depth=1
	s_or_b64 exec, exec, s[46:47]
	s_and_saveexec_b64 vcc, s[22:23]
; %bb.74:                               ;   in Loop: Header=BB6_49 Depth=1
	v_mul_lo_u32 v0, v13, v46
	v_mul_lo_u32 v4, v10, v51
	v_mad_u64_u32 v[14:15], s[22:23], v10, v46, 0
	v_add3_u32 v15, v15, v4, v0
; %bb.75:                               ;   in Loop: Header=BB6_49 Depth=1
	s_or_b64 exec, exec, vcc
	v_lshlrev_b64 v[10:11], 1, v[14:15]
	v_add_co_u32_e32 v10, vcc, v58, v10
	v_addc_co_u32_e32 v11, vcc, v59, v11, vcc
	s_trap 2
	ds_write_b64 v0, v[10:11]
	v_and_b32_e32 v0, 0x2000, v2
	v_cmp_ne_u32_e32 vcc, 0, v0
	s_and_saveexec_b64 s[22:23], vcc
	s_cbranch_execz .LBB6_77
; %bb.76:                               ;   in Loop: Header=BB6_49 Depth=1
	ds_read_b64 v[10:11], v0 offset:584
	s_waitcnt lgkmcnt(0)
	v_add_co_u32_e32 v10, vcc, 1, v10
	v_addc_co_u32_e32 v11, vcc, 0, v11, vcc
	ds_write_b64 v0, v[10:11] offset:584
.LBB6_77:                               ;   in Loop: Header=BB6_49 Depth=1
	s_or_b64 exec, exec, s[22:23]
	v_add_co_u32_e32 v8, vcc, 1, v8
	v_addc_co_u32_e32 v9, vcc, 0, v9, vcc
.LBB6_78:                               ;   in Loop: Header=BB6_49 Depth=1
	s_or_b64 exec, exec, s[44:45]
	s_and_saveexec_b64 s[22:23], s[12:13]
	s_cbranch_execz .LBB6_97
; %bb.79:                               ;   in Loop: Header=BB6_49 Depth=1
	s_and_saveexec_b64 vcc, s[34:35]
	s_xor_b64 s[44:45], exec, vcc
	s_cbranch_execz .LBB6_94
; %bb.80:                               ;   in Loop: Header=BB6_49 Depth=1
	s_and_saveexec_b64 s[46:47], s[14:15]
	s_cbranch_execz .LBB6_93
; %bb.81:                               ;   in Loop: Header=BB6_49 Depth=1
	s_mov_b64 s[50:51], exec
	v_mbcnt_lo_u32_b32 v0, s50, 0
	v_mbcnt_hi_u32_b32 v0, s51, v0
	v_cmp_eq_u32_e32 vcc, 0, v0
	s_waitcnt vmcnt(0) lgkmcnt(0)
	buffer_wbinvl1_vol
	s_and_saveexec_b64 s[48:49], vcc
	s_cbranch_execz .LBB6_83
; %bb.82:                               ;   in Loop: Header=BB6_49 Depth=1
	s_bcnt1_i32_b64 vcc_lo, s[50:51]
	v_mov_b32_e32 v10, vcc_lo
	v_mov_b32_e32 v11, v38
	ds_add_u64 v0, v[10:11]
	s_trap 2
.LBB6_83:                               ;   in Loop: Header=BB6_49 Depth=1
	s_or_b64 exec, exec, s[48:49]
	s_trap 2
	ds_read_b64 v[10:11], v0
	v_add_co_u32_e32 v36, vcc, v36, v52
	v_addc_co_u32_e32 v37, vcc, 0, v37, vcc
	s_waitcnt lgkmcnt(0)
	v_cmp_lt_u64_e32 vcc, v[10:11], v[36:37]
	s_and_saveexec_b64 s[48:49], vcc
	s_cbranch_execz .LBB6_92
; %bb.84:                               ;   in Loop: Header=BB6_49 Depth=1
	s_mov_b32 s60, 0
	s_mov_b64 s[50:51], 0
                                        ; implicit-def: $sgpr52_sgpr53
                                        ; implicit-def: $sgpr54_sgpr55
	s_branch .LBB6_86
.LBB6_85:                               ;   in Loop: Header=BB6_86 Depth=2
	s_or_b64 exec, exec, s[58:59]
	s_and_b64 vcc, exec, vcc
	s_or_b64 s[50:51], vcc, s[50:51]
	s_andn2_b64 vcc, s[52:53], exec
	s_and_b64 s[52:53], s[54:55], exec
	s_or_b64 s[52:53], vcc, s[52:53]
	s_andn2_b64 exec, exec, s[50:51]
	s_cbranch_execz .LBB6_90
.LBB6_86:                               ;   Parent Loop BB6_49 Depth=1
                                        ; =>  This Inner Loop Header: Depth=2
	s_add_i32 s60, s60, 1
	s_cmpk_lg_i32 s60, 0x2710
	s_cselect_b64 s[56:57], -1, 0
	s_and_b64 vcc, exec, s[56:57]
                                        ; implicit-def: $sgpr58_sgpr59
	s_cbranch_vccnz .LBB6_88
; %bb.87:                               ;   in Loop: Header=BB6_86 Depth=2
	s_trap 2
	ds_read_b64 v[10:11], v0
	s_andn2_b64 s[56:57], s[56:57], exec
	s_mov_b32 s60, 0
	s_mov_b64 s[58:59], -1
	s_waitcnt lgkmcnt(0)
	flat_load_dword v0, v[10:11] glc
	s_waitcnt vmcnt(0) lgkmcnt(0)
	buffer_invl2
	buffer_wbinvl1_vol
	v_cmp_eq_u32_e32 vcc, 0, v0
	s_and_b64 vcc, vcc, exec
	s_or_b64 s[56:57], s[56:57], vcc
.LBB6_88:                               ;   in Loop: Header=BB6_86 Depth=2
	s_andn2_b64 s[54:55], s[54:55], exec
	s_and_b64 s[58:59], s[58:59], exec
	s_mov_b64 vcc, -1
	s_or_b64 s[54:55], s[54:55], s[58:59]
	s_and_saveexec_b64 s[58:59], s[56:57]
	s_cbranch_execz .LBB6_85
; %bb.89:                               ;   in Loop: Header=BB6_86 Depth=2
	s_sleep 1
	s_trap 2
	ds_read_b64 v[10:11], v0
	s_andn2_b64 s[54:55], s[54:55], exec
	s_waitcnt lgkmcnt(0)
	v_cmp_ge_u64_e32 vcc, v[10:11], v[36:37]
	s_orn2_b64 vcc, vcc, exec
	s_branch .LBB6_85
.LBB6_90:                               ;   in Loop: Header=BB6_49 Depth=1
	s_or_b64 exec, exec, s[50:51]
	s_and_saveexec_b64 vcc, s[52:53]
	s_xor_b64 vcc, exec, vcc
	s_cbranch_execz .LBB6_92
; %bb.91:                               ;   in Loop: Header=BB6_49 Depth=1
	ds_write_b32 v0, v61
	s_trap 2
.LBB6_92:                               ;   in Loop: Header=BB6_49 Depth=1
	s_or_b64 exec, exec, s[48:49]
	;;#ASMSTART
	s_wakeup
	;;#ASMEND
.LBB6_93:                               ;   in Loop: Header=BB6_49 Depth=1
	s_or_b64 exec, exec, s[46:47]
.LBB6_94:                               ;   in Loop: Header=BB6_49 Depth=1
	s_andn2_saveexec_b64 vcc, s[44:45]
	s_cbranch_execz .LBB6_96
; %bb.95:                               ;   in Loop: Header=BB6_49 Depth=1
	s_waitcnt vmcnt(0) lgkmcnt(0)
	buffer_wbinvl1_vol
	s_barrier
.LBB6_96:                               ;   in Loop: Header=BB6_49 Depth=1
	s_or_b64 exec, exec, vcc
.LBB6_97:                               ;   in Loop: Header=BB6_49 Depth=1
	s_or_b64 exec, exec, s[22:23]
	s_trap 2
	ds_read_b32 v10, v0
	v_and_b32_e32 v0, 0x4000, v2
	v_cmp_ne_u32_e32 vcc, 0, v0
	s_and_b64 vcc, s[38:39], vcc
	s_and_saveexec_b64 s[22:23], vcc
	s_cbranch_execz .LBB6_116
; %bb.98:                               ;   in Loop: Header=BB6_49 Depth=1
	s_and_saveexec_b64 vcc, s[34:35]
	s_xor_b64 s[44:45], exec, vcc
	s_cbranch_execz .LBB6_113
; %bb.99:                               ;   in Loop: Header=BB6_49 Depth=1
	s_and_saveexec_b64 s[46:47], s[14:15]
	s_cbranch_execz .LBB6_112
; %bb.100:                              ;   in Loop: Header=BB6_49 Depth=1
	s_mov_b64 s[50:51], exec
	v_mbcnt_lo_u32_b32 v0, s50, 0
	v_mbcnt_hi_u32_b32 v0, s51, v0
	v_cmp_eq_u32_e32 vcc, 0, v0
	s_waitcnt vmcnt(0) lgkmcnt(0)
	buffer_wbinvl1_vol
	s_and_saveexec_b64 s[48:49], vcc
	s_cbranch_execz .LBB6_102
; %bb.101:                              ;   in Loop: Header=BB6_49 Depth=1
	s_bcnt1_i32_b64 vcc_lo, s[50:51]
	v_mov_b32_e32 v12, vcc_lo
	v_mov_b32_e32 v13, v38
	ds_add_u64 v0, v[12:13]
	s_trap 2
.LBB6_102:                              ;   in Loop: Header=BB6_49 Depth=1
	s_or_b64 exec, exec, s[48:49]
	s_trap 2
	ds_read_b64 v[12:13], v0
	v_add_co_u32_e32 v36, vcc, v36, v52
	v_addc_co_u32_e32 v37, vcc, 0, v37, vcc
	s_waitcnt lgkmcnt(0)
	v_cmp_lt_u64_e32 vcc, v[12:13], v[36:37]
	s_and_saveexec_b64 s[48:49], vcc
	s_cbranch_execz .LBB6_111
; %bb.103:                              ;   in Loop: Header=BB6_49 Depth=1
	s_mov_b32 s60, 0
	s_mov_b64 s[50:51], 0
                                        ; implicit-def: $sgpr52_sgpr53
                                        ; implicit-def: $sgpr54_sgpr55
	s_branch .LBB6_105
.LBB6_104:                              ;   in Loop: Header=BB6_105 Depth=2
	s_or_b64 exec, exec, s[58:59]
	s_and_b64 vcc, exec, vcc
	s_or_b64 s[50:51], vcc, s[50:51]
	s_andn2_b64 vcc, s[52:53], exec
	s_and_b64 s[52:53], s[54:55], exec
	s_or_b64 s[52:53], vcc, s[52:53]
	s_andn2_b64 exec, exec, s[50:51]
	s_cbranch_execz .LBB6_109
.LBB6_105:                              ;   Parent Loop BB6_49 Depth=1
                                        ; =>  This Inner Loop Header: Depth=2
	s_add_i32 s60, s60, 1
	s_cmpk_lg_i32 s60, 0x2710
	s_cselect_b64 s[56:57], -1, 0
	s_and_b64 vcc, exec, s[56:57]
                                        ; implicit-def: $sgpr58_sgpr59
	s_cbranch_vccnz .LBB6_107
; %bb.106:                              ;   in Loop: Header=BB6_105 Depth=2
	s_trap 2
	ds_read_b64 v[12:13], v0
	s_andn2_b64 s[56:57], s[56:57], exec
	s_mov_b32 s60, 0
	s_mov_b64 s[58:59], -1
	s_waitcnt lgkmcnt(0)
	flat_load_dword v0, v[12:13] glc
	s_waitcnt vmcnt(0) lgkmcnt(0)
	buffer_invl2
	buffer_wbinvl1_vol
	v_cmp_eq_u32_e32 vcc, 0, v0
	s_and_b64 vcc, vcc, exec
	s_or_b64 s[56:57], s[56:57], vcc
.LBB6_107:                              ;   in Loop: Header=BB6_105 Depth=2
	s_andn2_b64 s[54:55], s[54:55], exec
	s_and_b64 s[58:59], s[58:59], exec
	s_mov_b64 vcc, -1
	s_or_b64 s[54:55], s[54:55], s[58:59]
	s_and_saveexec_b64 s[58:59], s[56:57]
	s_cbranch_execz .LBB6_104
; %bb.108:                              ;   in Loop: Header=BB6_105 Depth=2
	s_sleep 1
	s_trap 2
	ds_read_b64 v[12:13], v0
	s_andn2_b64 s[54:55], s[54:55], exec
	s_waitcnt lgkmcnt(0)
	v_cmp_ge_u64_e32 vcc, v[12:13], v[36:37]
	s_orn2_b64 vcc, vcc, exec
	s_branch .LBB6_104
.LBB6_109:                              ;   in Loop: Header=BB6_49 Depth=1
	s_or_b64 exec, exec, s[50:51]
	s_and_saveexec_b64 vcc, s[52:53]
	s_xor_b64 vcc, exec, vcc
	s_cbranch_execz .LBB6_111
; %bb.110:                              ;   in Loop: Header=BB6_49 Depth=1
	ds_write_b32 v0, v61
	s_trap 2
.LBB6_111:                              ;   in Loop: Header=BB6_49 Depth=1
	s_or_b64 exec, exec, s[48:49]
	;;#ASMSTART
	s_wakeup
	;;#ASMEND
.LBB6_112:                              ;   in Loop: Header=BB6_49 Depth=1
	s_or_b64 exec, exec, s[46:47]
.LBB6_113:                              ;   in Loop: Header=BB6_49 Depth=1
	s_andn2_saveexec_b64 vcc, s[44:45]
	s_cbranch_execz .LBB6_115
; %bb.114:                              ;   in Loop: Header=BB6_49 Depth=1
	s_waitcnt vmcnt(0) lgkmcnt(0)
	buffer_wbinvl1_vol
	s_barrier
.LBB6_115:                              ;   in Loop: Header=BB6_49 Depth=1
	s_or_b64 exec, exec, vcc
.LBB6_116:                              ;   in Loop: Header=BB6_49 Depth=1
	s_or_b64 exec, exec, s[22:23]
	s_trap 2
	ds_read_b64 v[12:13], v0
	s_waitcnt lgkmcnt(0)
	v_readfirstlane_b32 s22, v12
	v_readfirstlane_b32 s23, v13
	s_cmp_eq_u64 s[22:23], 0
	s_cselect_b64 s[22:23], -1, 0
	s_or_b64 vcc, s[22:23], s[22:23]
	s_mov_b64 s[22:23], 0
	s_and_b64 vcc, exec, vcc
	s_cbranch_vccnz .LBB6_145
; %bb.117:                              ;   in Loop: Header=BB6_49 Depth=1
	s_mov_b64 s[22:23], -1
	s_and_saveexec_b64 s[44:45], s[16:17]
	s_cbranch_execz .LBB6_119
; %bb.118:                              ;   in Loop: Header=BB6_49 Depth=1
	ds_read_b32 v0, v0 offset:720
	s_waitcnt lgkmcnt(0)
	v_and_b32_e32 v0, 15, v0
	v_cmp_eq_u32_e32 vcc, 0, v0
	s_orn2_b64 s[22:23], vcc, exec
.LBB6_119:                              ;   in Loop: Header=BB6_49 Depth=1
	s_or_b64 exec, exec, s[44:45]
	s_and_saveexec_b64 s[44:45], s[18:19]
	s_cbranch_execz .LBB6_121
; %bb.120:                              ;   in Loop: Header=BB6_49 Depth=1
	ds_read_b32 v0, v0 offset:784
	s_waitcnt lgkmcnt(0)
	v_and_b32_e32 v0, 15, v0
	v_cmp_eq_u32_e32 vcc, 0, v0
	s_and_b64 vcc, s[22:23], vcc
	s_andn2_b64 s[22:23], s[22:23], exec
	s_and_b64 vcc, vcc, exec
	s_or_b64 s[22:23], s[22:23], vcc
.LBB6_121:                              ;   in Loop: Header=BB6_49 Depth=1
	s_or_b64 exec, exec, s[44:45]
	v_cmp_eq_u32_e32 vcc, 0, v10
	s_xor_b64 s[22:23], s[22:23], -1
	v_cndmask_b32_e32 v39, 0, v1, vcc
	v_cndmask_b32_e64 v0, 0, 1, s[22:23]
	v_mov_b32_e32 v18, 0
	v_lshlrev_b32_e32 v27, 1, v39
	s_mov_b64 s[46:47], -1
	;;#ASMSTART
	;;#ASMEND
	v_cmp_ne_u32_e32 vcc, 0, v0
	s_cbranch_vccz .LBB6_123
; %bb.122:                              ;   in Loop: Header=BB6_49 Depth=1
	v_mov_b32_e32 v19, v60
	v_mov_b32_e32 v10, v31
	s_and_saveexec_b64 s[22:23], s[46:47]
	s_cbranch_execnz .LBB6_136
	s_branch .LBB6_144
.LBB6_123:                              ;   in Loop: Header=BB6_49 Depth=1
	v_lshrrev_b32_e32 v49, 10, v39
	v_sub_u32_e32 v48, v49, v31
	v_cmp_lt_i32_e32 vcc, 0, v48
	s_and_saveexec_b64 s[22:23], vcc
	s_cbranch_execz .LBB6_127
; %bb.124:                              ;   in Loop: Header=BB6_49 Depth=1
	s_trap 2
	ds_read_b128 v[10:13], v0
	ds_read_b64 v[46:47], v0
	v_accvgpr_read_b32 v0, a20
	v_accvgpr_read_b32 v5, a21
	s_mov_b64 s[44:45], 0
	s_waitcnt lgkmcnt(0)
	v_add_co_u32_e32 v56, vcc, v10, v0
	v_addc_co_u32_e32 v57, vcc, v11, v5, vcc
	v_add_co_u32_e32 v58, vcc, v12, v0
	v_addc_co_u32_e32 v59, vcc, v13, v5, vcc
	;; [unrolled: 2-line block ×3, first 2 shown]
.LBB6_125:                              ;   Parent Loop BB6_49 Depth=1
                                        ; =>  This Inner Loop Header: Depth=2
	global_load_dwordx4 v[14:17], v[56:57], off glc slc
	global_load_dwordx4 v[10:13], v[56:57], off offset:1024 glc slc
	global_load_dwordx4 v[22:25], v[58:59], off glc slc
	global_load_dwordx4 v[18:21], v[58:59], off offset:1024 glc slc
	v_add_co_u32_e32 v56, vcc, v56, v41
	v_addc_co_u32_e32 v57, vcc, v57, v40, vcc
	v_add_co_u32_e32 v58, vcc, v58, v41
	v_addc_co_u32_e32 v59, vcc, v59, v40, vcc
	v_sub_u32_e32 v48, v48, v52
	v_cmp_gt_i32_e32 vcc, 1, v48
	s_or_b64 s[44:45], vcc, s[44:45]
	s_waitcnt vmcnt(0)
	v_lshrrev_b32_e32 v0, 16, v14
	v_lshrrev_b32_e32 v4, 16, v15
	;; [unrolled: 1-line block ×12, first 2 shown]
	v_fma_f16 v14, v46, v14, v22
	v_fma_f16 v15, v46, v15, v23
	;; [unrolled: 1-line block ×4, first 2 shown]
	v_lshrrev_b32_e32 v22, 16, v18
	v_lshrrev_b32_e32 v23, 16, v19
	;; [unrolled: 1-line block ×4, first 2 shown]
	v_fma_f16 v10, v46, v10, v18
	v_fma_f16 v18, v46, v11, v19
	;; [unrolled: 1-line block ×8, first 2 shown]
	v_and_b32_e32 v12, 0xffff, v14
	v_and_b32_e32 v14, 0xffff, v16
	v_fma_f16 v16, v46, v33, v22
	v_fma_f16 v20, v46, v55, v23
	v_and_b32_e32 v21, 0xffff, v10
	v_fma_f16 v10, v46, v45, v24
	v_fma_f16 v22, v46, v47, v25
	v_lshlrev_b32_e32 v4, 16, v4
	v_lshlrev_b32_e32 v0, 16, v0
	;; [unrolled: 1-line block ×4, first 2 shown]
	v_and_b32_e32 v23, 0xffff, v11
	v_lshlrev_b32_e32 v20, 16, v20
	v_lshlrev_b32_e32 v16, 16, v16
	;; [unrolled: 1-line block ×4, first 2 shown]
	v_or_b32_sdwa v11, v4, v15 dst_sel:DWORD dst_unused:UNUSED_PAD src0_sel:DWORD src1_sel:WORD_0
	v_or_b32_e32 v10, v0, v12
	v_or_b32_sdwa v13, v13, v17 dst_sel:DWORD dst_unused:UNUSED_PAD src0_sel:DWORD src1_sel:WORD_0
	v_or_b32_e32 v12, v5, v14
	;; [unrolled: 2-line block ×4, first 2 shown]
	global_store_dwordx4 v[60:61], v[10:13], off glc slc
	global_store_dwordx4 v[60:61], v[14:17], off offset:1024 glc slc
	v_add_co_u32_e32 v60, vcc, v60, v41
	v_addc_co_u32_e32 v61, vcc, v61, v40, vcc
	s_andn2_b64 exec, exec, s[44:45]
	s_cbranch_execnz .LBB6_125
; %bb.126:                              ;   in Loop: Header=BB6_49 Depth=1
	s_or_b64 exec, exec, s[44:45]
	v_accvgpr_read_b32 v57, a5
	v_accvgpr_read_b32 v59, a13
	;; [unrolled: 1-line block ×12, first 2 shown]
	v_mov_b32_e32 v61, 1
	v_accvgpr_read_b32 v21, a27
.LBB6_127:                              ;   in Loop: Header=BB6_49 Depth=1
	s_or_b64 exec, exec, s[22:23]
	v_lshlrev_b32_e32 v22, 11, v49
	v_cmp_ne_u32_e32 vcc, v27, v22
	s_mov_b64 s[46:47], 0
	v_mov_b32_e32 v18, 0
                                        ; implicit-def: $vgpr19
                                        ; implicit-def: $vgpr10
	s_and_saveexec_b64 s[44:45], vcc
	s_cbranch_execz .LBB6_135
; %bb.128:                              ;   in Loop: Header=BB6_49 Depth=1
	v_lshlrev_b32_e32 v0, 6, v48
	v_accvgpr_read_b32 v5, a19
	v_sub_u32_e32 v0, v5, v0
	v_ashrrev_i32_e32 v5, 31, v0
	v_lshrrev_b32_e32 v5, 26, v5
	v_add_u32_e32 v5, v0, v5
	v_ashrrev_i32_e32 v11, 6, v5
	v_and_b32_e32 v5, 0xffffffc0, v5
	v_sub_u32_e32 v0, v0, v5
	v_sub_u32_e32 v4, v27, v22
	v_lshlrev_b32_e32 v5, 4, v0
	v_lshl_add_u32 v10, v11, 10, v5
	v_ashrrev_i32_e32 v5, 31, v4
	v_lshrrev_b32_e32 v5, 22, v5
	v_add_u32_e32 v5, v4, v5
	v_and_b32_e32 v23, 0xfffffc00, v5
	v_sub_u32_e32 v25, v4, v23
	v_ashrrev_i32_e32 v12, 10, v5
	v_cmp_lt_i32_e32 vcc, 15, v25
	v_sub_u32_e32 v48, v4, v10
	v_addc_co_u32_e64 v4, s[22:23], 0, v12, vcc
	v_sub_u32_e32 v24, v4, v11
	v_cmp_lt_i32_e64 s[22:23], 15, v48
	s_and_saveexec_b64 s[46:47], s[22:23]
	s_cbranch_execz .LBB6_132
; %bb.129:                              ;   in Loop: Header=BB6_49 Depth=1
	s_trap 2
	ds_read_b128 v[16:19], v0
	ds_read_b64 v[14:15], v0
	v_add_u32_e32 v4, v10, v22
	v_ashrrev_i32_e32 v5, 31, v4
	s_mov_b64 s[48:49], 0
	s_waitcnt lgkmcnt(0)
	v_add_co_u32_e64 v16, s[22:23], v16, v4
	v_addc_co_u32_e64 v17, s[22:23], v17, v5, s[22:23]
	v_add_co_u32_e64 v18, s[22:23], v18, v4
	v_addc_co_u32_e64 v19, s[22:23], v19, v5, s[22:23]
	;; [unrolled: 2-line block ×3, first 2 shown]
.LBB6_130:                              ;   Parent Loop BB6_49 Depth=1
                                        ; =>  This Inner Loop Header: Depth=2
	global_load_dwordx4 v[10:13], v[16:17], off glc slc
	global_load_dwordx4 v[56:59], v[18:19], off glc slc
	v_add_co_u32_e64 v16, s[22:23], v16, v53
	v_addc_co_u32_e64 v17, s[22:23], v17, v3, s[22:23]
	v_add_co_u32_e64 v18, s[22:23], v18, v53
	v_addc_co_u32_e64 v19, s[22:23], v19, v3, s[22:23]
	v_sub_u32_e32 v48, v48, v54
	v_cmp_gt_i32_e64 s[22:23], 16, v48
	s_or_b64 s[48:49], s[22:23], s[48:49]
	v_sub_u32_e32 v24, v24, v52
	s_waitcnt vmcnt(0)
	v_lshrrev_b32_e32 v4, 16, v10
	v_lshrrev_b32_e32 v5, 16, v11
	v_lshrrev_b32_e32 v15, 16, v12
	v_lshrrev_b32_e32 v26, 16, v13
	v_lshrrev_b32_e32 v32, 16, v56
	v_lshrrev_b32_e32 v33, 16, v57
	v_lshrrev_b32_e32 v49, 16, v58
	v_lshrrev_b32_e32 v50, 16, v59
	v_fma_f16 v10, v14, v10, v56
	v_fma_f16 v12, v14, v12, v58
	;; [unrolled: 1-line block ×8, first 2 shown]
	v_and_b32_e32 v10, 0xffff, v10
	v_and_b32_e32 v12, 0xffff, v12
	v_lshlrev_b32_e32 v5, 16, v5
	v_lshlrev_b32_e32 v4, 16, v4
	v_lshlrev_b32_e32 v26, 16, v26
	v_lshlrev_b32_e32 v15, 16, v15
	v_or_b32_sdwa v11, v5, v11 dst_sel:DWORD dst_unused:UNUSED_PAD src0_sel:DWORD src1_sel:WORD_0
	v_or_b32_e32 v10, v4, v10
	v_or_b32_sdwa v13, v26, v13 dst_sel:DWORD dst_unused:UNUSED_PAD src0_sel:DWORD src1_sel:WORD_0
	v_or_b32_e32 v12, v15, v12
	global_store_dwordx4 v[20:21], v[10:13], off glc slc
	v_add_co_u32_e64 v20, s[22:23], v20, v53
	v_addc_co_u32_e64 v21, s[22:23], v21, v3, s[22:23]
	s_andn2_b64 exec, exec, s[48:49]
	s_cbranch_execnz .LBB6_130
; %bb.131:                              ;   in Loop: Header=BB6_49 Depth=1
	s_or_b64 exec, exec, s[48:49]
	v_accvgpr_read_b32 v57, a5
	v_accvgpr_read_b32 v59, a13
	;; [unrolled: 1-line block ×8, first 2 shown]
.LBB6_132:                              ;   in Loop: Header=BB6_49 Depth=1
	s_or_b64 exec, exec, s[46:47]
	v_and_b32_e32 v11, 14, v27
	v_cndmask_b32_e32 v27, v25, v11, vcc
	v_cmp_ne_u32_e64 s[22:23], 0, v27
	s_mov_b64 s[46:47], 0
	v_mov_b32_e32 v18, 0
                                        ; implicit-def: $vgpr19
                                        ; implicit-def: $vgpr10
	s_and_saveexec_b64 s[48:49], s[22:23]
	s_cbranch_execz .LBB6_134
; %bb.133:                              ;   in Loop: Header=BB6_49 Depth=1
	v_sub_u32_e32 v4, v25, v11
	v_cndmask_b32_e32 v4, 0, v4, vcc
	v_cmp_lt_i32_e32 vcc, 0, v24
	v_add3_u32 v18, v23, v22, v4
	v_cndmask_b32_e32 v4, 0, v52, vcc
	v_sub_u32_e32 v4, v4, v24
	v_lshl_add_u32 v19, v4, 6, v0
	v_ashrrev_i32_e32 v0, 31, v19
	v_lshrrev_b32_e32 v0, 26, v0
	v_add_u32_e32 v0, v19, v0
	s_mov_b64 s[46:47], exec
	v_ashrrev_i32_e32 v10, 6, v0
.LBB6_134:                              ;   in Loop: Header=BB6_49 Depth=1
	s_or_b64 exec, exec, s[48:49]
	s_and_b64 s[46:47], s[46:47], exec
.LBB6_135:                              ;   in Loop: Header=BB6_49 Depth=1
	s_or_b64 exec, exec, s[44:45]
	v_accvgpr_read_b32 v23, a17
	v_accvgpr_read_b32 v22, a16
	s_and_saveexec_b64 s[22:23], s[46:47]
	s_cbranch_execz .LBB6_144
.LBB6_136:                              ;   in Loop: Header=BB6_49 Depth=1
	v_ashrrev_i32_e32 v0, 31, v27
	v_lshrrev_b32_e32 v0, 22, v0
	v_add_u32_e32 v0, v27, v0
	v_ashrrev_i32_e32 v5, 10, v0
	v_sub_u32_e32 v0, v5, v10
	v_ashrrev_i32_e32 v4, 31, v19
	v_cmp_lt_i32_e32 vcc, 0, v0
	v_lshrrev_b32_e32 v4, 26, v4
	s_and_saveexec_b64 s[44:45], vcc
	s_cbranch_execz .LBB6_140
; %bb.137:                              ;   in Loop: Header=BB6_49 Depth=1
	s_trap 2
	v_accvgpr_write_b32 a28, v4
	v_add_u32_e32 v4, v19, v4
	ds_read_b128 v[12:15], v0
	v_and_b32_e32 v4, 0x7fffffc0, v4
	v_sub_u32_e32 v4, v19, v4
	v_accvgpr_write_b32 a29, v5
	v_lshlrev_b32_e32 v4, 1, v4
	v_lshlrev_b32_e32 v5, 10, v10
	ds_read_b64 v[10:11], v0
	v_add3_u32 v4, v4, v18, v5
	v_ashrrev_i32_e32 v5, 31, v4
	s_waitcnt lgkmcnt(0)
	v_add_co_u32_e32 v12, vcc, v12, v4
	v_addc_co_u32_e32 v13, vcc, v13, v5, vcc
	v_add_co_u32_e32 v14, vcc, v14, v4
	v_addc_co_u32_e32 v15, vcc, v15, v5, vcc
	;; [unrolled: 2-line block ×3, first 2 shown]
	v_add_co_u32_e32 v16, vcc, v16, v4
	v_accvgpr_write_b32 a25, v39
	v_accvgpr_write_b32 a22, v54
	v_mov_b32_e32 v39, v31
	v_accvgpr_write_b32 a18, v38
	v_addc_co_u32_e32 v17, vcc, v11, v5, vcc
	s_mov_b64 s[46:47], 0
	v_mov_b32_e32 v38, v52
.LBB6_138:                              ;   Parent Loop BB6_49 Depth=1
                                        ; =>  This Inner Loop Header: Depth=2
	flat_load_ushort v4, v[12:13] glc slc
	flat_load_ushort v5, v[12:13] offset:128 glc slc
	flat_load_ushort v11, v[12:13] offset:256 glc slc
	;; [unrolled: 1-line block ×7, first 2 shown]
	flat_load_ushort v55, v[14:15] glc slc
	flat_load_ushort v45, v[14:15] offset:128 glc slc
	flat_load_ushort v62, v[14:15] offset:256 glc slc
	;; [unrolled: 1-line block ×7, first 2 shown]
	v_add_co_u32_e32 v22, vcc, s67, v16
	v_addc_co_u32_e32 v23, vcc, -1, v17, vcc
	v_add_co_u32_e32 v24, vcc, s68, v16
	v_addc_co_u32_e32 v25, vcc, -1, v17, vcc
	;; [unrolled: 2-line block ×7, first 2 shown]
	v_add_co_u32_e32 v12, vcc, v12, v53
	v_addc_co_u32_e32 v13, vcc, v13, v3, vcc
	v_add_co_u32_e32 v14, vcc, v14, v53
	v_addc_co_u32_e32 v15, vcc, v15, v3, vcc
	v_sub_u32_e32 v0, v0, v38
	v_cmp_gt_i32_e32 vcc, 1, v0
	s_or_b64 s[46:47], vcc, s[46:47]
	s_waitcnt vmcnt(0) lgkmcnt(0)
	v_fma_f16 v4, v4, v10, v55
	v_fma_f16 v5, v5, v10, v45
	;; [unrolled: 1-line block ×8, first 2 shown]
	flat_store_short v[22:23], v4 glc slc
	flat_store_short v[24:25], v5 glc slc
	;; [unrolled: 1-line block ×8, first 2 shown]
	v_add_co_u32_e32 v16, vcc, v16, v53
	v_addc_co_u32_e32 v17, vcc, v17, v3, vcc
	s_andn2_b64 exec, exec, s[46:47]
	s_cbranch_execnz .LBB6_138
; %bb.139:                              ;   in Loop: Header=BB6_49 Depth=1
	s_or_b64 exec, exec, s[46:47]
	v_accvgpr_read_b32 v57, a5
	v_accvgpr_read_b32 v59, a13
	v_accvgpr_read_b32 v33, a15
	v_accvgpr_read_b32 v23, a17
	v_accvgpr_read_b32 v20, a26
	v_accvgpr_read_b32 v60, a3
	v_accvgpr_read_b32 v56, a4
	v_accvgpr_read_b32 v46, a10
	v_accvgpr_read_b32 v58, a12
	v_accvgpr_read_b32 v32, a14
	v_accvgpr_read_b32 v51, a11
	v_mov_b32_e32 v52, v38
	v_accvgpr_read_b32 v22, a16
	v_accvgpr_read_b32 v38, a18
	v_mov_b32_e32 v31, v39
	v_accvgpr_read_b32 v54, a22
	v_accvgpr_read_b32 v55, a23
	;; [unrolled: 1-line block ×3, first 2 shown]
	v_mov_b32_e32 v61, 1
	v_accvgpr_read_b32 v21, a27
	v_accvgpr_read_b32 v39, a25
	;; [unrolled: 1-line block ×4, first 2 shown]
.LBB6_140:                              ;   in Loop: Header=BB6_49 Depth=1
	s_or_b64 exec, exec, s[44:45]
	v_lshlrev_b32_e32 v10, 10, v5
	v_cmp_ne_u32_e32 vcc, v27, v10
	s_and_b64 exec, exec, vcc
	s_cbranch_execz .LBB6_144
; %bb.141:                              ;   in Loop: Header=BB6_49 Depth=1
	v_add_u32_e32 v4, v19, v4
	v_and_b32_e32 v4, 0xffffffc0, v4
	v_sub_u32_e32 v4, v19, v4
	v_lshlrev_b32_e32 v0, 6, v0
	v_sub_u32_e32 v0, v4, v0
	v_ashrrev_i32_e32 v4, 31, v0
	v_lshrrev_b32_e32 v4, 26, v4
	v_add_u32_e32 v4, v0, v4
	v_and_b32_e32 v5, 0x7fffffc0, v4
	v_sub_u32_e32 v0, v0, v5
	v_lshlrev_b32_e32 v4, 1, v4
	v_and_b32_e32 v4, 0xffffff80, v4
	v_lshlrev_b32_e32 v0, 1, v0
	v_add3_u32 v10, v4, v0, v10
	v_sub_u32_e32 v0, v27, v10
	v_cmp_lt_i32_e32 vcc, 1, v0
	s_and_b64 exec, exec, vcc
	s_cbranch_execz .LBB6_144
; %bb.142:                              ;   in Loop: Header=BB6_49 Depth=1
	s_trap 2
	ds_read_b128 v[12:15], v0
	v_add_u32_e32 v4, v10, v18
	ds_read_b64 v[10:11], v0
	v_ashrrev_i32_e32 v5, 31, v4
	s_mov_b64 s[44:45], 0
	s_waitcnt lgkmcnt(0)
	v_add_co_u32_e32 v12, vcc, v12, v4
	v_addc_co_u32_e32 v13, vcc, v13, v5, vcc
	v_add_co_u32_e32 v14, vcc, v14, v4
	v_addc_co_u32_e32 v15, vcc, v15, v5, vcc
	;; [unrolled: 2-line block ×3, first 2 shown]
.LBB6_143:                              ;   Parent Loop BB6_49 Depth=1
                                        ; =>  This Inner Loop Header: Depth=2
	flat_load_ushort v4, v[12:13] glc slc
	flat_load_ushort v5, v[14:15] glc slc
	v_add_co_u32_e32 v12, vcc, v12, v47
	v_addc_co_u32_e32 v13, vcc, v13, v30, vcc
	v_add_co_u32_e32 v14, vcc, v14, v47
	v_addc_co_u32_e32 v15, vcc, v15, v30, vcc
	v_sub_u32_e32 v0, v0, v55
	v_cmp_gt_i32_e32 vcc, 2, v0
	s_or_b64 s[44:45], vcc, s[44:45]
	s_waitcnt vmcnt(0) lgkmcnt(0)
	v_fma_f16 v4, v4, v10, v5
	flat_store_short v[16:17], v4 glc slc
	v_add_co_u32_e32 v16, vcc, v16, v47
	v_addc_co_u32_e32 v17, vcc, v17, v30, vcc
	s_andn2_b64 exec, exec, s[44:45]
	s_cbranch_execnz .LBB6_143
.LBB6_144:                              ;   in Loop: Header=BB6_49 Depth=1
	s_or_b64 exec, exec, s[22:23]
	v_cmp_ne_u32_e64 s[22:23], 0, v39
.LBB6_145:                              ;   in Loop: Header=BB6_49 Depth=1
	s_and_saveexec_b64 s[44:45], s[12:13]
	s_cbranch_execz .LBB6_164
; %bb.146:                              ;   in Loop: Header=BB6_49 Depth=1
	s_and_saveexec_b64 vcc, s[34:35]
	s_xor_b64 s[46:47], exec, vcc
	s_cbranch_execz .LBB6_161
; %bb.147:                              ;   in Loop: Header=BB6_49 Depth=1
	s_and_saveexec_b64 s[48:49], s[14:15]
	s_cbranch_execz .LBB6_160
; %bb.148:                              ;   in Loop: Header=BB6_49 Depth=1
	s_mov_b64 s[52:53], exec
	v_mbcnt_lo_u32_b32 v0, s52, 0
	v_mbcnt_hi_u32_b32 v0, s53, v0
	v_cmp_eq_u32_e32 vcc, 0, v0
	s_waitcnt vmcnt(0) lgkmcnt(0)
	buffer_wbinvl1_vol
	s_and_saveexec_b64 s[50:51], vcc
	s_cbranch_execz .LBB6_150
; %bb.149:                              ;   in Loop: Header=BB6_49 Depth=1
	s_bcnt1_i32_b64 vcc_lo, s[52:53]
	v_mov_b32_e32 v10, vcc_lo
	v_mov_b32_e32 v11, v38
	ds_add_u64 v0, v[10:11]
	s_trap 2
.LBB6_150:                              ;   in Loop: Header=BB6_49 Depth=1
	s_or_b64 exec, exec, s[50:51]
	s_trap 2
	ds_read_b64 v[10:11], v0
	v_add_co_u32_e32 v36, vcc, v36, v52
	v_addc_co_u32_e32 v37, vcc, 0, v37, vcc
	s_waitcnt lgkmcnt(0)
	v_cmp_lt_u64_e32 vcc, v[10:11], v[36:37]
	s_and_saveexec_b64 s[50:51], vcc
	s_cbranch_execz .LBB6_159
; %bb.151:                              ;   in Loop: Header=BB6_49 Depth=1
	s_mov_b32 s73, 0
	s_mov_b64 s[52:53], 0
                                        ; implicit-def: $sgpr54_sgpr55
                                        ; implicit-def: $sgpr56_sgpr57
	s_branch .LBB6_153
.LBB6_152:                              ;   in Loop: Header=BB6_153 Depth=2
	s_or_b64 exec, exec, s[60:61]
	s_and_b64 vcc, exec, vcc
	s_or_b64 s[52:53], vcc, s[52:53]
	s_andn2_b64 vcc, s[54:55], exec
	s_and_b64 s[54:55], s[56:57], exec
	s_or_b64 s[54:55], vcc, s[54:55]
	s_andn2_b64 exec, exec, s[52:53]
	s_cbranch_execz .LBB6_157
.LBB6_153:                              ;   Parent Loop BB6_49 Depth=1
                                        ; =>  This Inner Loop Header: Depth=2
	s_add_i32 s73, s73, 1
	s_cmpk_lg_i32 s73, 0x2710
	s_cselect_b64 s[58:59], -1, 0
	s_and_b64 vcc, exec, s[58:59]
                                        ; implicit-def: $sgpr60_sgpr61
	s_cbranch_vccnz .LBB6_155
; %bb.154:                              ;   in Loop: Header=BB6_153 Depth=2
	s_trap 2
	ds_read_b64 v[10:11], v0
	s_andn2_b64 s[58:59], s[58:59], exec
	s_mov_b32 s73, 0
	s_mov_b64 s[60:61], -1
	s_waitcnt lgkmcnt(0)
	flat_load_dword v0, v[10:11] glc
	s_waitcnt vmcnt(0) lgkmcnt(0)
	buffer_invl2
	buffer_wbinvl1_vol
	v_cmp_eq_u32_e32 vcc, 0, v0
	s_and_b64 vcc, vcc, exec
	s_or_b64 s[58:59], s[58:59], vcc
.LBB6_155:                              ;   in Loop: Header=BB6_153 Depth=2
	s_andn2_b64 s[56:57], s[56:57], exec
	s_and_b64 s[60:61], s[60:61], exec
	s_mov_b64 vcc, -1
	s_or_b64 s[56:57], s[56:57], s[60:61]
	s_and_saveexec_b64 s[60:61], s[58:59]
	s_cbranch_execz .LBB6_152
; %bb.156:                              ;   in Loop: Header=BB6_153 Depth=2
	s_sleep 1
	s_trap 2
	ds_read_b64 v[10:11], v0
	s_andn2_b64 s[56:57], s[56:57], exec
	s_waitcnt lgkmcnt(0)
	v_cmp_ge_u64_e32 vcc, v[10:11], v[36:37]
	s_orn2_b64 vcc, vcc, exec
	s_branch .LBB6_152
.LBB6_157:                              ;   in Loop: Header=BB6_49 Depth=1
	s_or_b64 exec, exec, s[52:53]
	s_and_saveexec_b64 vcc, s[54:55]
	s_xor_b64 vcc, exec, vcc
	s_cbranch_execz .LBB6_159
; %bb.158:                              ;   in Loop: Header=BB6_49 Depth=1
	ds_write_b32 v0, v61
	s_trap 2
.LBB6_159:                              ;   in Loop: Header=BB6_49 Depth=1
	s_or_b64 exec, exec, s[50:51]
	;;#ASMSTART
	s_wakeup
	;;#ASMEND
.LBB6_160:                              ;   in Loop: Header=BB6_49 Depth=1
	s_or_b64 exec, exec, s[48:49]
.LBB6_161:                              ;   in Loop: Header=BB6_49 Depth=1
	s_andn2_saveexec_b64 vcc, s[46:47]
	s_cbranch_execz .LBB6_163
; %bb.162:                              ;   in Loop: Header=BB6_49 Depth=1
	s_waitcnt vmcnt(0) lgkmcnt(0)
	buffer_wbinvl1_vol
	s_barrier
.LBB6_163:                              ;   in Loop: Header=BB6_49 Depth=1
	s_or_b64 exec, exec, vcc
.LBB6_164:                              ;   in Loop: Header=BB6_49 Depth=1
	s_or_b64 exec, exec, s[44:45]
	v_and_b32_e32 v0, 16, v2
	v_cmp_ne_u32_e32 vcc, 0, v0
	s_and_b64 vcc, vcc, s[22:23]
	s_and_saveexec_b64 s[22:23], vcc
	s_cbranch_execz .LBB6_166
; %bb.165:                              ;   in Loop: Header=BB6_49 Depth=1
	s_waitcnt vmcnt(0) lgkmcnt(0)
	buffer_wbinvl1_vol
.LBB6_166:                              ;   in Loop: Header=BB6_49 Depth=1
	s_or_b64 exec, exec, s[22:23]
	v_cmp_ne_u32_e32 vcc, 0, v0
	s_xor_b64 s[22:23], s[20:21], -1
	s_and_b64 vcc, vcc, s[22:23]
	s_and_saveexec_b64 s[22:23], vcc
	s_cbranch_execz .LBB6_168
; %bb.167:                              ;   in Loop: Header=BB6_49 Depth=1
	flat_store_dword v[32:33], v61
.LBB6_168:                              ;   in Loop: Header=BB6_49 Depth=1
	s_or_b64 exec, exec, s[22:23]
	v_and_b32_e32 v0, 48, v2
	v_cmp_ne_u32_e32 vcc, 0, v0
	s_and_saveexec_b64 s[22:23], vcc
	s_cbranch_execz .LBB6_170
; %bb.169:                              ;   in Loop: Header=BB6_49 Depth=1
	v_add_co_u32_e32 v8, vcc, 1, v8
	v_addc_co_u32_e32 v9, vcc, 0, v9, vcc
	flat_store_dwordx2 v[28:29], v[8:9]
.LBB6_170:                              ;   in Loop: Header=BB6_49 Depth=1
	s_or_b64 exec, exec, s[22:23]
	v_mov_b32_e32 v11, v1
.LBB6_171:                              ;   in Loop: Header=BB6_49 Depth=1
	s_or_b64 exec, exec, s[42:43]
	s_and_saveexec_b64 s[42:43], s[40:41]
	s_cbranch_execz .LBB6_48
; %bb.172:                              ;   in Loop: Header=BB6_49 Depth=1
	v_and_b32_e32 v0, 12, v2
	v_cmp_ne_u32_e32 vcc, 0, v0
	s_mov_b64 s[40:41], -1
	s_and_saveexec_b64 s[22:23], vcc
	s_cbranch_execz .LBB6_184
; %bb.173:                              ;   in Loop: Header=BB6_49 Depth=1
	v_and_b32_e32 v10, 8, v2
	v_add_co_u32_e32 v14, vcc, v34, v10
	v_addc_co_u32_e32 v15, vcc, 0, v35, vcc
	v_add_co_u32_e32 v12, vcc, 1, v8
	v_addc_co_u32_e32 v13, vcc, 0, v9, vcc
	v_cmp_lt_u64_e32 vcc, v[14:15], v[12:13]
	v_mov_b32_e32 v0, 1
	s_and_saveexec_b64 s[40:41], vcc
	s_cbranch_execz .LBB6_183
; %bb.174:                              ;   in Loop: Header=BB6_49 Depth=1
	s_mov_b64 s[44:45], 0
	v_mov_b32_e32 v0, 0
                                        ; implicit-def: $sgpr46_sgpr47
	s_branch .LBB6_178
.LBB6_175:                              ;   in Loop: Header=BB6_178 Depth=2
	s_or_b64 exec, exec, s[54:55]
	v_mov_b32_e32 v14, 0
	s_orn2_b64 s[52:53], s[52:53], exec
.LBB6_176:                              ;   in Loop: Header=BB6_178 Depth=2
	s_or_b64 exec, exec, s[50:51]
	s_andn2_b64 vcc, s[46:47], exec
	s_and_b64 s[46:47], s[52:53], exec
	s_or_b64 s[46:47], vcc, s[46:47]
	v_mov_b32_e32 v0, v14
.LBB6_177:                              ;   in Loop: Header=BB6_178 Depth=2
	s_or_b64 exec, exec, s[48:49]
	s_waitcnt vmcnt(0) lgkmcnt(0)
	v_add_co_u32_e32 v14, vcc, v34, v10
	v_addc_co_u32_e32 v15, vcc, 0, v35, vcc
	v_cmp_ge_u64_e32 vcc, v[14:15], v[12:13]
	s_xor_b64 s[48:49], s[46:47], -1
	s_or_b64 vcc, s[48:49], vcc
	s_and_b64 vcc, exec, vcc
	s_or_b64 s[44:45], vcc, s[44:45]
	s_andn2_b64 exec, exec, s[44:45]
	s_cbranch_execz .LBB6_182
.LBB6_178:                              ;   Parent Loop BB6_49 Depth=1
                                        ; =>  This Inner Loop Header: Depth=2
	s_sleep 1
	flat_load_dwordx2 v[34:35], v[28:29] glc
	v_and_b32_e32 v4, 64, v2
	v_cmp_eq_u32_e32 vcc, 0, v4
	s_andn2_b64 s[46:47], s[46:47], exec
	s_and_saveexec_b64 s[48:49], vcc
	s_cbranch_execz .LBB6_177
; %bb.179:                              ;   in Loop: Header=BB6_178 Depth=2
	v_add_u32_e32 v14, 1, v0
	v_cmp_lt_i32_e32 vcc, s65, v0
	s_mov_b64 s[52:53], -1
	s_and_saveexec_b64 s[50:51], vcc
	s_cbranch_execz .LBB6_176
; %bb.180:                              ;   in Loop: Header=BB6_178 Depth=2
	s_trap 2
	ds_read_b64 v[14:15], v0
	s_waitcnt vmcnt(0) lgkmcnt(0)
	flat_load_dword v0, v[14:15] glc
	s_waitcnt vmcnt(0) lgkmcnt(0)
	buffer_invl2
	buffer_wbinvl1_vol
	v_cmp_ne_u32_e32 vcc, 0, v0
	s_and_saveexec_b64 s[54:55], vcc
	s_cbranch_execz .LBB6_175
; %bb.181:                              ;   in Loop: Header=BB6_178 Depth=2
	v_or_b32_e32 v2, 64, v2
	s_xor_b64 s[52:53], exec, -1
	ds_write_b32 v0, v0
	s_trap 2
	s_branch .LBB6_175
.LBB6_182:                              ;   in Loop: Header=BB6_49 Depth=1
	s_or_b64 exec, exec, s[44:45]
	v_and_b32_e32 v0, 12, v2
.LBB6_183:                              ;   in Loop: Header=BB6_49 Depth=1
	s_or_b64 exec, exec, s[40:41]
	v_cmp_eq_u32_e32 vcc, 0, v0
	s_orn2_b64 s[40:41], vcc, exec
	;;#ASMSTART
	s_wakeup
	;;#ASMEND
.LBB6_184:                              ;   in Loop: Header=BB6_49 Depth=1
	s_or_b64 exec, exec, s[22:23]
	v_sub_u32_e32 v0, v44, v11
	s_xor_b64 s[22:23], s[40:41], -1
	v_min_i32_e32 v10, v1, v0
	s_and_saveexec_b64 s[40:41], s[22:23]
	s_cbranch_execz .LBB6_198
; %bb.185:                              ;   in Loop: Header=BB6_49 Depth=1
	v_and_b32_e32 v0, 0x108, v2
	v_cmp_ne_u32_e32 vcc, s66, v0
	v_and_b32_e32 v12, 7, v8
	s_and_saveexec_b64 s[22:23], vcc
	s_xor_b64 s[22:23], exec, s[22:23]
                                        ; implicit-def: $vgpr14_vgpr15
; %bb.186:                              ;   in Loop: Header=BB6_49 Depth=1
	v_mov_b32_e32 v15, v38
; %bb.187:                              ;   in Loop: Header=BB6_49 Depth=1
	s_andn2_saveexec_b64 s[22:23], s[22:23]
	s_cbranch_execz .LBB6_189
; %bb.188:                              ;   in Loop: Header=BB6_49 Depth=1
	v_ashrrev_i32_e32 v11, 31, v10
	v_mov_b32_e32 v15, v38
	v_mad_u64_u32 v[0:1], vcc, v12, 24, v[6:7]
	v_lshlrev_b64 v[16:17], 1, v[10:11]
	flat_store_dwordx2 v[0:1], v[16:17] offset:8
.LBB6_189:                              ;   in Loop: Header=BB6_49 Depth=1
	s_or_b64 exec, exec, s[22:23]
	v_and_b32_e32 v0, 0x100, v2
	v_cmp_ne_u32_e32 vcc, 0, v0
	s_mov_b64 s[22:23], -1
                                        ; implicit-def: $vgpr16_vgpr17
	s_and_saveexec_b64 s[44:45], vcc
	s_cbranch_execz .LBB6_193
; %bb.190:                              ;   in Loop: Header=BB6_49 Depth=1
	v_mad_u64_u32 v[18:19], s[22:23], v12, 24, v[6:7]
	v_mov_b32_e32 v0, v19
	v_mad_u64_u32 v[0:1], s[22:23], v15, 24, v[0:1]
	v_mov_b32_e32 v19, v0
	flat_load_dword v0, v[18:19]
                                        ; implicit-def: $vgpr16_vgpr17
	s_waitcnt vmcnt(0) lgkmcnt(0)
	v_cmp_ne_u32_e32 vcc, 1, v0
	v_cmp_eq_u32_e64 s[22:23], 1, v0
	s_and_saveexec_b64 s[46:47], s[22:23]
	s_cbranch_execz .LBB6_192
; %bb.191:                              ;   in Loop: Header=BB6_49 Depth=1
	flat_load_dword v0, v[18:19] offset:4 glc
	s_waitcnt vmcnt(0) lgkmcnt(0)
	v_ashrrev_i32_e32 v1, 31, v0
	v_lshrrev_b64 v[16:17], 1, v[0:1]
.LBB6_192:                              ;   in Loop: Header=BB6_49 Depth=1
	s_or_b64 exec, exec, s[46:47]
	s_orn2_b64 s[22:23], vcc, exec
.LBB6_193:                              ;   in Loop: Header=BB6_49 Depth=1
	s_or_b64 exec, exec, s[44:45]
	s_and_saveexec_b64 vcc, s[22:23]
; %bb.194:                              ;   in Loop: Header=BB6_49 Depth=1
	v_mul_lo_u32 v0, v15, v46
	v_mul_lo_u32 v1, v12, v51
	v_mad_u64_u32 v[16:17], s[22:23], v12, v46, 0
	v_add3_u32 v17, v17, v1, v0
; %bb.195:                              ;   in Loop: Header=BB6_49 Depth=1
	s_or_b64 exec, exec, vcc
	v_lshlrev_b64 v[0:1], 1, v[16:17]
	v_add_co_u32_e32 v0, vcc, v58, v0
	v_addc_co_u32_e32 v1, vcc, v59, v1, vcc
	s_trap 2
	ds_write_b64 v0, v[0:1]
	v_and_b32_e32 v0, 0x2000, v2
	v_cmp_ne_u32_e32 vcc, 0, v0
	s_and_saveexec_b64 s[22:23], vcc
	s_cbranch_execz .LBB6_197
; %bb.196:                              ;   in Loop: Header=BB6_49 Depth=1
	ds_read_b64 v[0:1], v0 offset:584
	s_waitcnt lgkmcnt(0)
	v_add_co_u32_e32 v0, vcc, 1, v0
	v_addc_co_u32_e32 v1, vcc, 0, v1, vcc
	ds_write_b64 v0, v[0:1] offset:584
.LBB6_197:                              ;   in Loop: Header=BB6_49 Depth=1
	s_or_b64 exec, exec, s[22:23]
	v_add_co_u32_e32 v8, vcc, 1, v8
	v_addc_co_u32_e32 v9, vcc, 0, v9, vcc
.LBB6_198:                              ;   in Loop: Header=BB6_49 Depth=1
	s_or_b64 exec, exec, s[40:41]
	s_and_saveexec_b64 s[22:23], s[12:13]
	s_cbranch_execz .LBB6_217
; %bb.199:                              ;   in Loop: Header=BB6_49 Depth=1
	s_and_saveexec_b64 vcc, s[34:35]
	s_xor_b64 s[40:41], exec, vcc
	s_cbranch_execz .LBB6_214
; %bb.200:                              ;   in Loop: Header=BB6_49 Depth=1
	s_and_saveexec_b64 s[44:45], s[14:15]
	s_cbranch_execz .LBB6_213
; %bb.201:                              ;   in Loop: Header=BB6_49 Depth=1
	s_mov_b64 s[48:49], exec
	v_mbcnt_lo_u32_b32 v0, s48, 0
	v_mbcnt_hi_u32_b32 v0, s49, v0
	v_cmp_eq_u32_e32 vcc, 0, v0
	s_waitcnt vmcnt(0) lgkmcnt(0)
	buffer_wbinvl1_vol
	s_and_saveexec_b64 s[46:47], vcc
	s_cbranch_execz .LBB6_203
; %bb.202:                              ;   in Loop: Header=BB6_49 Depth=1
	s_bcnt1_i32_b64 vcc_lo, s[48:49]
	v_mov_b32_e32 v0, vcc_lo
	v_mov_b32_e32 v1, v38
	ds_add_u64 v0, v[0:1]
	s_trap 2
.LBB6_203:                              ;   in Loop: Header=BB6_49 Depth=1
	s_or_b64 exec, exec, s[46:47]
	s_trap 2
	ds_read_b64 v[0:1], v0
	v_add_co_u32_e32 v36, vcc, v36, v52
	v_addc_co_u32_e32 v37, vcc, 0, v37, vcc
	s_waitcnt lgkmcnt(0)
	v_cmp_lt_u64_e32 vcc, v[0:1], v[36:37]
	s_and_saveexec_b64 s[46:47], vcc
	s_cbranch_execz .LBB6_212
; %bb.204:                              ;   in Loop: Header=BB6_49 Depth=1
	s_mov_b32 s58, 0
	s_mov_b64 s[48:49], 0
                                        ; implicit-def: $sgpr50_sgpr51
                                        ; implicit-def: $sgpr52_sgpr53
	s_branch .LBB6_206
.LBB6_205:                              ;   in Loop: Header=BB6_206 Depth=2
	s_or_b64 exec, exec, s[56:57]
	s_and_b64 vcc, exec, vcc
	s_or_b64 s[48:49], vcc, s[48:49]
	s_andn2_b64 vcc, s[50:51], exec
	s_and_b64 s[50:51], s[52:53], exec
	s_or_b64 s[50:51], vcc, s[50:51]
	s_andn2_b64 exec, exec, s[48:49]
	s_cbranch_execz .LBB6_210
.LBB6_206:                              ;   Parent Loop BB6_49 Depth=1
                                        ; =>  This Inner Loop Header: Depth=2
	s_add_i32 s58, s58, 1
	s_cmpk_lg_i32 s58, 0x2710
	s_cselect_b64 s[54:55], -1, 0
	s_and_b64 vcc, exec, s[54:55]
                                        ; implicit-def: $sgpr56_sgpr57
	s_cbranch_vccnz .LBB6_208
; %bb.207:                              ;   in Loop: Header=BB6_206 Depth=2
	s_trap 2
	ds_read_b64 v[0:1], v0
	s_andn2_b64 s[54:55], s[54:55], exec
	s_mov_b32 s58, 0
	s_mov_b64 s[56:57], -1
	s_waitcnt lgkmcnt(0)
	flat_load_dword v0, v[0:1] glc
	s_waitcnt vmcnt(0) lgkmcnt(0)
	buffer_invl2
	buffer_wbinvl1_vol
	v_cmp_eq_u32_e32 vcc, 0, v0
	s_and_b64 vcc, vcc, exec
	s_or_b64 s[54:55], s[54:55], vcc
.LBB6_208:                              ;   in Loop: Header=BB6_206 Depth=2
	s_andn2_b64 s[52:53], s[52:53], exec
	s_and_b64 s[56:57], s[56:57], exec
	s_mov_b64 vcc, -1
	s_or_b64 s[52:53], s[52:53], s[56:57]
	s_and_saveexec_b64 s[56:57], s[54:55]
	s_cbranch_execz .LBB6_205
; %bb.209:                              ;   in Loop: Header=BB6_206 Depth=2
	s_sleep 1
	s_trap 2
	ds_read_b64 v[0:1], v0
	s_andn2_b64 s[52:53], s[52:53], exec
	s_waitcnt lgkmcnt(0)
	v_cmp_ge_u64_e32 vcc, v[0:1], v[36:37]
	s_orn2_b64 vcc, vcc, exec
	s_branch .LBB6_205
.LBB6_210:                              ;   in Loop: Header=BB6_49 Depth=1
	s_or_b64 exec, exec, s[48:49]
	s_and_saveexec_b64 vcc, s[50:51]
	s_xor_b64 vcc, exec, vcc
	s_cbranch_execz .LBB6_212
; %bb.211:                              ;   in Loop: Header=BB6_49 Depth=1
	ds_write_b32 v0, v61
	s_trap 2
.LBB6_212:                              ;   in Loop: Header=BB6_49 Depth=1
	s_or_b64 exec, exec, s[46:47]
	;;#ASMSTART
	s_wakeup
	;;#ASMEND
.LBB6_213:                              ;   in Loop: Header=BB6_49 Depth=1
	s_or_b64 exec, exec, s[44:45]
.LBB6_214:                              ;   in Loop: Header=BB6_49 Depth=1
	s_andn2_saveexec_b64 vcc, s[40:41]
	s_cbranch_execz .LBB6_216
; %bb.215:                              ;   in Loop: Header=BB6_49 Depth=1
	s_waitcnt vmcnt(0) lgkmcnt(0)
	buffer_wbinvl1_vol
	s_barrier
.LBB6_216:                              ;   in Loop: Header=BB6_49 Depth=1
	s_or_b64 exec, exec, vcc
.LBB6_217:                              ;   in Loop: Header=BB6_49 Depth=1
	s_or_b64 exec, exec, s[22:23]
	s_trap 2
	ds_read_b32 v1, v0
	v_cmp_lt_i32_e32 vcc, 0, v10
	v_and_b32_e32 v0, 16, v2
	s_waitcnt lgkmcnt(0)
	v_readfirstlane_b32 s22, v1
	s_cmp_eq_u32 s22, 0
	s_cselect_b64 s[22:23], -1, 0
	s_and_b64 s[22:23], vcc, s[22:23]
	v_cmp_ne_u32_e32 vcc, 0, v0
	s_and_b64 vcc, vcc, s[22:23]
	s_and_saveexec_b64 s[22:23], vcc
	s_cbranch_execz .LBB6_219
; %bb.218:                              ;   in Loop: Header=BB6_49 Depth=1
	s_waitcnt vmcnt(0)
	buffer_wbinvl1_vol
.LBB6_219:                              ;   in Loop: Header=BB6_49 Depth=1
	s_or_b64 exec, exec, s[22:23]
	v_cmp_ne_u32_e32 vcc, 0, v0
	s_xor_b64 s[22:23], s[20:21], -1
	s_and_b64 vcc, vcc, s[22:23]
	s_and_saveexec_b64 s[22:23], vcc
	s_cbranch_execz .LBB6_221
; %bb.220:                              ;   in Loop: Header=BB6_49 Depth=1
	flat_store_dword v[32:33], v61
.LBB6_221:                              ;   in Loop: Header=BB6_49 Depth=1
	s_or_b64 exec, exec, s[22:23]
	v_and_b32_e32 v0, 48, v2
	v_cmp_ne_u32_e32 vcc, 0, v0
	s_and_saveexec_b64 s[22:23], vcc
	s_cbranch_execz .LBB6_47
; %bb.222:                              ;   in Loop: Header=BB6_49 Depth=1
	v_add_co_u32_e32 v8, vcc, 1, v8
	v_addc_co_u32_e32 v9, vcc, 0, v9, vcc
	flat_store_dwordx2 v[28:29], v[8:9]
	s_branch .LBB6_47
.LBB6_223:
	s_or_b64 exec, exec, s[36:37]
	v_accvgpr_read_b32 v27, a9
	v_accvgpr_read_b32 v24, a0
	;; [unrolled: 1-line block ×5, first 2 shown]
.LBB6_224:
	s_or_b64 exec, exec, s[30:31]
                                        ; implicit-def: $vgpr48_vgpr49
                                        ; implicit-def: $vgpr56_vgpr57
                                        ; implicit-def: $vgpr46
                                        ; implicit-def: $vgpr34_vgpr35
                                        ; implicit-def: $vgpr58_vgpr59
                                        ; implicit-def: $vgpr28_vgpr29
                                        ; implicit-def: $vgpr60
                                        ; implicit-def: $vgpr1
                                        ; implicit-def: $vgpr22_vgpr23
.LBB6_225:
	s_andn2_saveexec_b64 s[20:21], s[28:29]
	s_cbranch_execz .LBB6_394
; %bb.226:
	v_pk_mov_b32 v[36:37], 0, 0
	s_and_saveexec_b64 s[22:23], s[6:7]
	s_cbranch_execz .LBB6_393
; %bb.227:
	v_and_b32_e32 v0, 63, v31
	v_cmp_eq_u32_e64 s[12:13], 0, v0
	v_ashrrev_i32_e32 v0, 31, v60
	v_lshrrev_b32_e32 v0, 26, v0
	v_add_u32_e32 v0, v60, v0
	v_ashrrev_i32_e32 v51, 6, v0
	v_and_b32_e32 v0, 0xffffffc0, v0
	v_sub_u32_e32 v3, v60, v0
	v_lshlrev_b32_e32 v0, 11, v51
	v_accvgpr_write_b32 a8, v26
	v_lshl_add_u32 v0, v3, 4, v0
	v_accvgpr_write_b32 a9, v27
	v_lshrrev_b32_e32 v26, 6, v24
	v_cmp_le_i32_e64 s[14:15], v3, v1
	v_accvgpr_write_b32 a20, v0
	v_ashrrev_i32_e32 v1, 31, v0
	v_mov_b32_e32 v0, 0xfffff800
	v_lshl_add_u32 v0, v26, 11, v0
	s_movk_i32 s18, 0x800
	v_accvgpr_write_b32 a1, v31
	v_accvgpr_write_b32 a21, v1
	v_ashrrev_i32_e32 v1, 31, v0
	v_add_co_u32_e64 v31, s[18:19], s18, v0
	v_addc_co_u32_e64 v55, s[18:19], 0, v1, s[18:19]
	v_lshlrev_b32_e32 v53, 10, v26
	v_add_u32_e32 v0, 0xfffffc00, v53
	s_movk_i32 s18, 0x400
	v_ashrrev_i32_e32 v1, 31, v0
	v_add_co_u32_e64 v61, s[18:19], s18, v0
	v_addc_co_u32_e64 v62, s[18:19], 0, v1, s[18:19]
	s_waitcnt vmcnt(0)
	v_lshlrev_b32_e32 v20, 7, v26
	s_lshr_b32 s6, s62, 27
	v_add_u32_e32 v0, 0xffffff80, v20
	s_movk_i32 s18, 0x80
	s_add_i32 s6, s62, s6
	v_cmp_eq_u32_e32 vcc, 64, v24
	v_ashrrev_i32_e32 v1, 31, v0
	v_add_co_u32_e64 v21, s[18:19], s18, v0
	v_pk_mov_b32 v[40:41], 0, 0
	v_accvgpr_write_b32 a4, v56
	s_waitcnt lgkmcnt(0)
	v_accvgpr_write_b32 a12, v58
	v_accvgpr_write_b32 a18, v22
	s_ashr_i32 s58, s6, 5
	v_cmp_ge_i32_e64 s[6:7], v60, v24
	v_cmp_ne_u32_e64 s[10:11], 64, v24
	v_accvgpr_write_b32 a2, v19
	v_cmp_ne_u32_sdwa s[28:29], v19, v24 src0_sel:WORD_0 src1_sel:DWORD
	v_accvgpr_write_b32 a0, v24
	v_mov_b32_e32 v39, 0
	v_cmp_gt_i32_e64 s[16:17], 1, v3
	v_accvgpr_write_b32 a17, v3
	s_movk_i32 s59, 0xff80
	v_addc_co_u32_e64 v54, s[18:19], 0, v1, s[18:19]
	s_mov_b64 s[30:31], 0
	s_movk_i32 s60, 0x270e
	s_xor_b64 s[34:35], vcc, -1
	s_movk_i32 s61, 0xfc80
	s_movk_i32 s63, 0xfd00
	;; [unrolled: 1-line block ×6, first 2 shown]
	v_pk_mov_b32 v[36:37], v[40:41], v[40:41] op_sel:[0,1]
	v_accvgpr_write_b32 a3, v60
	v_accvgpr_write_b32 a5, v57
	;; [unrolled: 1-line block ×10, first 2 shown]
	s_trap 2
	s_branch .LBB6_230
.LBB6_228:                              ;   in Loop: Header=BB6_230 Depth=1
	s_or_b64 exec, exec, s[18:19]
.LBB6_229:                              ;   in Loop: Header=BB6_230 Depth=1
	s_or_b64 exec, exec, s[38:39]
	v_add_co_u32_e32 v40, vcc, v40, v22
	v_addc_co_u32_e32 v41, vcc, 0, v41, vcc
	v_cmp_ge_u64_e32 vcc, v[40:41], v[56:57]
	s_or_b64 s[30:31], vcc, s[30:31]
	s_andn2_b64 exec, exec, s[30:31]
	s_cbranch_execz .LBB6_392
.LBB6_230:                              ; =>This Loop Header: Depth=1
                                        ;     Child Loop BB6_241 Depth 2
                                        ;     Child Loop BB6_263 Depth 2
	;; [unrolled: 1-line block ×10, first 2 shown]
	v_sub_co_u32_e32 v0, vcc, v56, v40
	v_subb_co_u32_e32 v1, vcc, v57, v41, vcc
	v_cmp_lt_u64_e32 vcc, v[22:23], v[0:1]
	v_cndmask_b32_e64 v43, v1, 0, vcc
	v_cndmask_b32_e32 v42, v0, v22, vcc
	v_add_u32_e32 v0, 15, v42
	v_cmp_eq_u64_e32 vcc, 0, v[42:43]
	v_and_b32_e32 v0, 0x3ffffff0, v0
	s_or_b64 s[36:37], s[6:7], vcc
	v_max_i32_e32 v1, s58, v0
	s_xor_b64 s[18:19], s[36:37], -1
	v_mov_b32_e32 v14, 0
	s_and_saveexec_b64 s[38:39], s[18:19]
	s_cbranch_execz .LBB6_346
; %bb.231:                              ;   in Loop: Header=BB6_230 Depth=1
	s_and_saveexec_b64 s[18:19], s[4:5]
	s_cbranch_execz .LBB6_233
; %bb.232:                              ;   in Loop: Header=BB6_230 Depth=1
	s_trap 2
	ds_read2_b64 v[10:13], v0 offset1:1
	ds_read_b64 v[16:17], v0
	v_add_co_u32_e32 v14, vcc, v40, v48
	v_addc_co_u32_e32 v15, vcc, v41, v49, vcc
	v_lshlrev_b64 v[14:15], 1, v[14:15]
	s_waitcnt lgkmcnt(0)
	v_add_co_u32_e32 v10, vcc, v10, v14
	v_addc_co_u32_e32 v11, vcc, v11, v15, vcc
	ds_write_b64 v0, v[10:11]
	v_add_co_u32_e32 v10, vcc, v12, v14
	v_addc_co_u32_e32 v11, vcc, v13, v15, vcc
	ds_write_b64 v0, v[10:11]
	s_waitcnt lgkmcnt(2)
	v_add_co_u32_e32 v0, vcc, v16, v14
	v_addc_co_u32_e32 v4, vcc, v17, v15, vcc
	v_cmp_ne_u64_e32 vcc, 0, v[16:17]
	v_cndmask_b32_e32 v11, 0, v4, vcc
	v_cndmask_b32_e32 v10, 0, v0, vcc
	ds_write_b64 v0, v[10:11]
.LBB6_233:                              ;   in Loop: Header=BB6_230 Depth=1
	s_or_b64 exec, exec, s[18:19]
	v_and_b32_e32 v0, 4, v2
	v_cmp_ne_u32_e32 vcc, 0, v0
	s_mov_b64 s[40:41], -1
	s_and_saveexec_b64 s[18:19], vcc
	s_cbranch_execnz .LBB6_236
; %bb.234:                              ;   in Loop: Header=BB6_230 Depth=1
	s_or_b64 exec, exec, s[18:19]
	s_xor_b64 s[18:19], s[40:41], -1
	s_and_saveexec_b64 s[40:41], s[18:19]
	s_cbranch_execnz .LBB6_247
.LBB6_235:                              ;   in Loop: Header=BB6_230 Depth=1
	s_or_b64 exec, exec, s[40:41]
	s_and_saveexec_b64 s[18:19], s[10:11]
	s_cbranch_execnz .LBB6_256
	s_branch .LBB6_274
.LBB6_236:                              ;   in Loop: Header=BB6_230 Depth=1
	v_add_co_u32_e32 v10, vcc, 1, v8
	v_addc_co_u32_e32 v11, vcc, 0, v9, vcc
	v_cmp_lt_u64_e32 vcc, v[34:35], v[10:11]
	v_mov_b32_e32 v0, 1
	s_and_saveexec_b64 s[40:41], vcc
	s_cbranch_execz .LBB6_246
; %bb.237:                              ;   in Loop: Header=BB6_230 Depth=1
	s_mov_b64 s[42:43], 0
	v_mov_b32_e32 v0, 0
                                        ; implicit-def: $sgpr44_sgpr45
	s_branch .LBB6_241
.LBB6_238:                              ;   in Loop: Header=BB6_241 Depth=2
	s_or_b64 exec, exec, s[52:53]
	v_mov_b32_e32 v12, 0
	s_orn2_b64 s[50:51], s[50:51], exec
.LBB6_239:                              ;   in Loop: Header=BB6_241 Depth=2
	s_or_b64 exec, exec, s[48:49]
	s_andn2_b64 vcc, s[44:45], exec
	s_and_b64 s[44:45], s[50:51], exec
	s_or_b64 s[44:45], vcc, s[44:45]
	v_mov_b32_e32 v0, v12
.LBB6_240:                              ;   in Loop: Header=BB6_241 Depth=2
	s_or_b64 exec, exec, s[46:47]
	s_waitcnt vmcnt(0) lgkmcnt(0)
	v_cmp_ge_u64_e32 vcc, v[34:35], v[10:11]
	s_xor_b64 s[46:47], s[44:45], -1
	s_or_b64 vcc, s[46:47], vcc
	s_and_b64 vcc, exec, vcc
	s_or_b64 s[42:43], vcc, s[42:43]
	s_andn2_b64 exec, exec, s[42:43]
	s_cbranch_execz .LBB6_245
.LBB6_241:                              ;   Parent Loop BB6_230 Depth=1
                                        ; =>  This Inner Loop Header: Depth=2
	s_sleep 1
	flat_load_dwordx2 v[34:35], v[28:29] glc
	v_and_b32_e32 v4, 64, v2
	v_cmp_eq_u32_e32 vcc, 0, v4
	s_andn2_b64 s[44:45], s[44:45], exec
	s_and_saveexec_b64 s[46:47], vcc
	s_cbranch_execz .LBB6_240
; %bb.242:                              ;   in Loop: Header=BB6_241 Depth=2
	v_add_u32_e32 v12, 1, v0
	v_cmp_lt_i32_e32 vcc, s60, v0
	s_mov_b64 s[50:51], -1
	s_and_saveexec_b64 s[48:49], vcc
	s_cbranch_execz .LBB6_239
; %bb.243:                              ;   in Loop: Header=BB6_241 Depth=2
	s_trap 2
	ds_read_b64 v[12:13], v0
	s_waitcnt vmcnt(0) lgkmcnt(0)
	flat_load_dword v0, v[12:13] glc
	s_waitcnt vmcnt(0) lgkmcnt(0)
	buffer_invl2
	buffer_wbinvl1_vol
	v_cmp_ne_u32_e32 vcc, 0, v0
	s_and_saveexec_b64 s[52:53], vcc
	s_cbranch_execz .LBB6_238
; %bb.244:                              ;   in Loop: Header=BB6_241 Depth=2
	v_or_b32_e32 v2, 64, v2
	s_xor_b64 s[50:51], exec, -1
	ds_write_b32 v0, v0
	s_trap 2
	s_branch .LBB6_238
.LBB6_245:                              ;   in Loop: Header=BB6_230 Depth=1
	s_or_b64 exec, exec, s[42:43]
	v_and_b32_e32 v0, 4, v2
.LBB6_246:                              ;   in Loop: Header=BB6_230 Depth=1
	s_or_b64 exec, exec, s[40:41]
	v_cmp_eq_u32_e32 vcc, 0, v0
	s_orn2_b64 s[40:41], vcc, exec
	;;#ASMSTART
	s_wakeup
	;;#ASMEND
	s_or_b64 exec, exec, s[18:19]
	s_xor_b64 s[18:19], s[40:41], -1
	s_and_saveexec_b64 s[40:41], s[18:19]
	s_cbranch_execz .LBB6_235
.LBB6_247:                              ;   in Loop: Header=BB6_230 Depth=1
	v_and_b32_e32 v0, 0x100, v2
	v_cmp_ne_u32_e32 vcc, 0, v0
	v_and_b32_e32 v0, 7, v8
	s_mov_b64 s[18:19], -1
                                        ; implicit-def: $vgpr10_vgpr11
	s_and_saveexec_b64 s[42:43], vcc
	s_cbranch_execz .LBB6_251
; %bb.248:                              ;   in Loop: Header=BB6_230 Depth=1
	v_mad_u64_u32 v[12:13], s[18:19], v0, 24, v[6:7]
	flat_load_dword v4, v[12:13]
                                        ; implicit-def: $vgpr10_vgpr11
	s_waitcnt vmcnt(0) lgkmcnt(0)
	v_cmp_ne_u32_e32 vcc, 1, v4
	v_cmp_eq_u32_e64 s[18:19], 1, v4
	s_and_saveexec_b64 s[44:45], s[18:19]
	s_cbranch_execz .LBB6_250
; %bb.249:                              ;   in Loop: Header=BB6_230 Depth=1
	flat_load_dword v10, v[12:13] offset:4 glc
	s_waitcnt vmcnt(0) lgkmcnt(0)
	v_ashrrev_i32_e32 v11, 31, v10
	v_lshrrev_b64 v[10:11], 1, v[10:11]
.LBB6_250:                              ;   in Loop: Header=BB6_230 Depth=1
	s_or_b64 exec, exec, s[44:45]
	s_orn2_b64 s[18:19], vcc, exec
.LBB6_251:                              ;   in Loop: Header=BB6_230 Depth=1
	s_or_b64 exec, exec, s[42:43]
	s_and_saveexec_b64 vcc, s[18:19]
; %bb.252:                              ;   in Loop: Header=BB6_230 Depth=1
	v_mad_i64_i32 v[10:11], s[18:19], v0, v46, 0
; %bb.253:                              ;   in Loop: Header=BB6_230 Depth=1
	s_or_b64 exec, exec, vcc
	v_lshlrev_b64 v[10:11], 1, v[10:11]
	v_add_co_u32_e32 v10, vcc, v58, v10
	v_addc_co_u32_e32 v11, vcc, v59, v11, vcc
	ds_write_b64 v0, v[10:11] offset:728
	v_and_b32_e32 v0, 0x2000, v2
	v_cmp_ne_u32_e32 vcc, 0, v0
	s_and_saveexec_b64 s[18:19], vcc
	s_cbranch_execz .LBB6_255
; %bb.254:                              ;   in Loop: Header=BB6_230 Depth=1
	ds_read_b64 v[10:11], v0 offset:584
	s_waitcnt lgkmcnt(0)
	v_add_co_u32_e32 v10, vcc, 1, v10
	v_addc_co_u32_e32 v11, vcc, 0, v11, vcc
	ds_write_b64 v0, v[10:11] offset:584
.LBB6_255:                              ;   in Loop: Header=BB6_230 Depth=1
	s_or_b64 exec, exec, s[18:19]
	v_add_co_u32_e32 v8, vcc, 1, v8
	v_addc_co_u32_e32 v9, vcc, 0, v9, vcc
	s_or_b64 exec, exec, s[40:41]
	s_and_saveexec_b64 s[18:19], s[10:11]
	s_cbranch_execz .LBB6_274
.LBB6_256:                              ;   in Loop: Header=BB6_230 Depth=1
	s_and_saveexec_b64 vcc, s[28:29]
	s_xor_b64 s[40:41], exec, vcc
	s_cbranch_execz .LBB6_271
; %bb.257:                              ;   in Loop: Header=BB6_230 Depth=1
	s_and_saveexec_b64 s[42:43], s[12:13]
	s_cbranch_execz .LBB6_270
; %bb.258:                              ;   in Loop: Header=BB6_230 Depth=1
	s_mov_b64 s[46:47], exec
	v_mbcnt_lo_u32_b32 v0, s46, 0
	v_mbcnt_hi_u32_b32 v0, s47, v0
	v_cmp_eq_u32_e32 vcc, 0, v0
	s_waitcnt vmcnt(0) lgkmcnt(0)
	buffer_wbinvl1_vol
	s_and_saveexec_b64 s[44:45], vcc
	s_cbranch_execz .LBB6_260
; %bb.259:                              ;   in Loop: Header=BB6_230 Depth=1
	s_bcnt1_i32_b64 vcc_lo, s[46:47]
	v_mov_b32_e32 v38, vcc_lo
	ds_add_u64 v0, v[38:39]
	s_trap 2
.LBB6_260:                              ;   in Loop: Header=BB6_230 Depth=1
	s_or_b64 exec, exec, s[44:45]
	s_trap 2
	ds_read_b64 v[10:11], v0
	v_add_co_u32_e32 v36, vcc, v36, v26
	v_addc_co_u32_e32 v37, vcc, 0, v37, vcc
	s_waitcnt lgkmcnt(0)
	v_cmp_lt_u64_e32 vcc, v[10:11], v[36:37]
	s_and_saveexec_b64 s[44:45], vcc
	s_cbranch_execz .LBB6_269
; %bb.261:                              ;   in Loop: Header=BB6_230 Depth=1
	s_mov_b32 s56, 0
	s_mov_b64 s[46:47], 0
                                        ; implicit-def: $sgpr48_sgpr49
                                        ; implicit-def: $sgpr50_sgpr51
	s_branch .LBB6_263
.LBB6_262:                              ;   in Loop: Header=BB6_263 Depth=2
	s_or_b64 exec, exec, s[54:55]
	s_and_b64 vcc, exec, vcc
	s_or_b64 s[46:47], vcc, s[46:47]
	s_andn2_b64 vcc, s[48:49], exec
	s_and_b64 s[48:49], s[50:51], exec
	s_or_b64 s[48:49], vcc, s[48:49]
	s_andn2_b64 exec, exec, s[46:47]
	s_cbranch_execz .LBB6_267
.LBB6_263:                              ;   Parent Loop BB6_230 Depth=1
                                        ; =>  This Inner Loop Header: Depth=2
	s_add_i32 s56, s56, 1
	s_cmpk_lg_i32 s56, 0x2710
	s_cselect_b64 s[52:53], -1, 0
	s_and_b64 vcc, exec, s[52:53]
                                        ; implicit-def: $sgpr54_sgpr55
	s_cbranch_vccnz .LBB6_265
; %bb.264:                              ;   in Loop: Header=BB6_263 Depth=2
	s_trap 2
	ds_read_b64 v[10:11], v0
	s_andn2_b64 s[52:53], s[52:53], exec
	s_mov_b32 s56, 0
	s_mov_b64 s[54:55], -1
	s_waitcnt lgkmcnt(0)
	flat_load_dword v0, v[10:11] glc
	s_waitcnt vmcnt(0) lgkmcnt(0)
	buffer_invl2
	buffer_wbinvl1_vol
	v_cmp_eq_u32_e32 vcc, 0, v0
	s_and_b64 vcc, vcc, exec
	s_or_b64 s[52:53], s[52:53], vcc
.LBB6_265:                              ;   in Loop: Header=BB6_263 Depth=2
	s_andn2_b64 s[50:51], s[50:51], exec
	s_and_b64 s[54:55], s[54:55], exec
	s_mov_b64 vcc, -1
	s_or_b64 s[50:51], s[50:51], s[54:55]
	s_and_saveexec_b64 s[54:55], s[52:53]
	s_cbranch_execz .LBB6_262
; %bb.266:                              ;   in Loop: Header=BB6_263 Depth=2
	s_sleep 1
	s_trap 2
	ds_read_b64 v[10:11], v0
	s_andn2_b64 s[50:51], s[50:51], exec
	s_waitcnt lgkmcnt(0)
	v_cmp_ge_u64_e32 vcc, v[10:11], v[36:37]
	s_orn2_b64 vcc, vcc, exec
	s_branch .LBB6_262
.LBB6_267:                              ;   in Loop: Header=BB6_230 Depth=1
	s_or_b64 exec, exec, s[46:47]
	s_and_saveexec_b64 vcc, s[48:49]
	s_xor_b64 vcc, exec, vcc
	s_cbranch_execz .LBB6_269
; %bb.268:                              ;   in Loop: Header=BB6_230 Depth=1
	v_mov_b32_e32 v0, 1
	ds_write_b32 v0, v0
	s_trap 2
.LBB6_269:                              ;   in Loop: Header=BB6_230 Depth=1
	s_or_b64 exec, exec, s[44:45]
	;;#ASMSTART
	s_wakeup
	;;#ASMEND
.LBB6_270:                              ;   in Loop: Header=BB6_230 Depth=1
	s_or_b64 exec, exec, s[42:43]
.LBB6_271:                              ;   in Loop: Header=BB6_230 Depth=1
	s_andn2_saveexec_b64 vcc, s[40:41]
	s_cbranch_execz .LBB6_273
; %bb.272:                              ;   in Loop: Header=BB6_230 Depth=1
	s_waitcnt vmcnt(0) lgkmcnt(0)
	buffer_wbinvl1_vol
	s_barrier
.LBB6_273:                              ;   in Loop: Header=BB6_230 Depth=1
	s_or_b64 exec, exec, vcc
.LBB6_274:                              ;   in Loop: Header=BB6_230 Depth=1
	s_or_b64 exec, exec, s[18:19]
	s_trap 2
	ds_read_b32 v10, v0
	v_and_b32_e32 v0, 0x4000, v2
	v_cmp_ne_u32_e32 vcc, 0, v0
	s_and_b64 vcc, s[34:35], vcc
	s_and_saveexec_b64 s[18:19], vcc
	s_cbranch_execz .LBB6_293
; %bb.275:                              ;   in Loop: Header=BB6_230 Depth=1
	s_and_saveexec_b64 vcc, s[28:29]
	s_xor_b64 s[40:41], exec, vcc
	s_cbranch_execz .LBB6_290
; %bb.276:                              ;   in Loop: Header=BB6_230 Depth=1
	s_and_saveexec_b64 s[42:43], s[12:13]
	s_cbranch_execz .LBB6_289
; %bb.277:                              ;   in Loop: Header=BB6_230 Depth=1
	s_mov_b64 s[46:47], exec
	v_mbcnt_lo_u32_b32 v0, s46, 0
	v_mbcnt_hi_u32_b32 v0, s47, v0
	v_cmp_eq_u32_e32 vcc, 0, v0
	s_waitcnt vmcnt(0) lgkmcnt(0)
	buffer_wbinvl1_vol
	s_and_saveexec_b64 s[44:45], vcc
	s_cbranch_execz .LBB6_279
; %bb.278:                              ;   in Loop: Header=BB6_230 Depth=1
	s_bcnt1_i32_b64 vcc_lo, s[46:47]
	v_mov_b32_e32 v38, vcc_lo
	ds_add_u64 v0, v[38:39]
	s_trap 2
.LBB6_279:                              ;   in Loop: Header=BB6_230 Depth=1
	s_or_b64 exec, exec, s[44:45]
	s_trap 2
	ds_read_b64 v[12:13], v0
	v_add_co_u32_e32 v36, vcc, v36, v26
	v_addc_co_u32_e32 v37, vcc, 0, v37, vcc
	s_waitcnt lgkmcnt(0)
	v_cmp_lt_u64_e32 vcc, v[12:13], v[36:37]
	s_and_saveexec_b64 s[44:45], vcc
	s_cbranch_execz .LBB6_288
; %bb.280:                              ;   in Loop: Header=BB6_230 Depth=1
	s_mov_b32 s56, 0
	s_mov_b64 s[46:47], 0
                                        ; implicit-def: $sgpr48_sgpr49
                                        ; implicit-def: $sgpr50_sgpr51
	s_branch .LBB6_282
.LBB6_281:                              ;   in Loop: Header=BB6_282 Depth=2
	s_or_b64 exec, exec, s[54:55]
	s_and_b64 vcc, exec, vcc
	s_or_b64 s[46:47], vcc, s[46:47]
	s_andn2_b64 vcc, s[48:49], exec
	s_and_b64 s[48:49], s[50:51], exec
	s_or_b64 s[48:49], vcc, s[48:49]
	s_andn2_b64 exec, exec, s[46:47]
	s_cbranch_execz .LBB6_286
.LBB6_282:                              ;   Parent Loop BB6_230 Depth=1
                                        ; =>  This Inner Loop Header: Depth=2
	s_add_i32 s56, s56, 1
	s_cmpk_lg_i32 s56, 0x2710
	s_cselect_b64 s[52:53], -1, 0
	s_and_b64 vcc, exec, s[52:53]
                                        ; implicit-def: $sgpr54_sgpr55
	s_cbranch_vccnz .LBB6_284
; %bb.283:                              ;   in Loop: Header=BB6_282 Depth=2
	s_trap 2
	ds_read_b64 v[12:13], v0
	s_andn2_b64 s[52:53], s[52:53], exec
	s_mov_b32 s56, 0
	s_mov_b64 s[54:55], -1
	s_waitcnt lgkmcnt(0)
	flat_load_dword v0, v[12:13] glc
	s_waitcnt vmcnt(0) lgkmcnt(0)
	buffer_invl2
	buffer_wbinvl1_vol
	v_cmp_eq_u32_e32 vcc, 0, v0
	s_and_b64 vcc, vcc, exec
	s_or_b64 s[52:53], s[52:53], vcc
.LBB6_284:                              ;   in Loop: Header=BB6_282 Depth=2
	s_andn2_b64 s[50:51], s[50:51], exec
	s_and_b64 s[54:55], s[54:55], exec
	s_mov_b64 vcc, -1
	s_or_b64 s[50:51], s[50:51], s[54:55]
	s_and_saveexec_b64 s[54:55], s[52:53]
	s_cbranch_execz .LBB6_281
; %bb.285:                              ;   in Loop: Header=BB6_282 Depth=2
	s_sleep 1
	s_trap 2
	ds_read_b64 v[12:13], v0
	s_andn2_b64 s[50:51], s[50:51], exec
	s_waitcnt lgkmcnt(0)
	v_cmp_ge_u64_e32 vcc, v[12:13], v[36:37]
	s_orn2_b64 vcc, vcc, exec
	s_branch .LBB6_281
.LBB6_286:                              ;   in Loop: Header=BB6_230 Depth=1
	s_or_b64 exec, exec, s[46:47]
	s_and_saveexec_b64 vcc, s[48:49]
	s_xor_b64 vcc, exec, vcc
	s_cbranch_execz .LBB6_288
; %bb.287:                              ;   in Loop: Header=BB6_230 Depth=1
	v_mov_b32_e32 v0, 1
	ds_write_b32 v0, v0
	s_trap 2
.LBB6_288:                              ;   in Loop: Header=BB6_230 Depth=1
	s_or_b64 exec, exec, s[44:45]
	;;#ASMSTART
	s_wakeup
	;;#ASMEND
.LBB6_289:                              ;   in Loop: Header=BB6_230 Depth=1
	s_or_b64 exec, exec, s[42:43]
.LBB6_290:                              ;   in Loop: Header=BB6_230 Depth=1
	s_andn2_saveexec_b64 vcc, s[40:41]
	s_cbranch_execz .LBB6_292
; %bb.291:                              ;   in Loop: Header=BB6_230 Depth=1
	s_waitcnt vmcnt(0) lgkmcnt(0)
	buffer_wbinvl1_vol
	s_barrier
.LBB6_292:                              ;   in Loop: Header=BB6_230 Depth=1
	s_or_b64 exec, exec, vcc
.LBB6_293:                              ;   in Loop: Header=BB6_230 Depth=1
	s_or_b64 exec, exec, s[18:19]
	s_trap 2
	ds_read_b64 v[12:13], v0
	v_min_u32_e32 v1, v1, v42
	s_waitcnt lgkmcnt(0)
	v_readfirstlane_b32 s18, v12
	v_readfirstlane_b32 s19, v13
	s_cmp_eq_u64 s[18:19], 0
	s_cselect_b64 s[18:19], -1, 0
	s_or_b64 vcc, s[18:19], s[18:19]
	s_mov_b64 s[18:19], 0
	s_and_b64 vcc, exec, vcc
	s_cbranch_vccnz .LBB6_322
; %bb.294:                              ;   in Loop: Header=BB6_230 Depth=1
	s_mov_b64 s[18:19], -1
	s_and_saveexec_b64 s[40:41], s[14:15]
	s_cbranch_execz .LBB6_296
; %bb.295:                              ;   in Loop: Header=BB6_230 Depth=1
	ds_read_b32 v0, v0 offset:720
	s_waitcnt lgkmcnt(0)
	v_and_b32_e32 v0, 15, v0
	v_cmp_eq_u32_e32 vcc, 0, v0
	s_orn2_b64 s[18:19], vcc, exec
.LBB6_296:                              ;   in Loop: Header=BB6_230 Depth=1
	s_or_b64 exec, exec, s[40:41]
	s_and_saveexec_b64 s[40:41], s[16:17]
	s_cbranch_execz .LBB6_298
; %bb.297:                              ;   in Loop: Header=BB6_230 Depth=1
	ds_read_b32 v0, v0 offset:784
	s_waitcnt lgkmcnt(0)
	v_and_b32_e32 v0, 15, v0
	v_cmp_eq_u32_e32 vcc, 0, v0
	s_and_b64 vcc, s[18:19], vcc
	s_andn2_b64 s[18:19], s[18:19], exec
	s_and_b64 vcc, vcc, exec
	s_or_b64 s[18:19], s[18:19], vcc
.LBB6_298:                              ;   in Loop: Header=BB6_230 Depth=1
	s_or_b64 exec, exec, s[40:41]
	v_cmp_eq_u32_e32 vcc, 0, v10
	s_xor_b64 s[18:19], s[18:19], -1
	v_cndmask_b32_e32 v30, 0, v1, vcc
	v_cndmask_b32_e64 v0, 0, 1, s[18:19]
	v_mov_b32_e32 v18, 0
	v_lshlrev_b32_e32 v27, 1, v30
	s_mov_b64 s[42:43], -1
	;;#ASMSTART
	;;#ASMEND
	v_cmp_ne_u32_e32 vcc, 0, v0
	s_cbranch_vccz .LBB6_300
; %bb.299:                              ;   in Loop: Header=BB6_230 Depth=1
	v_mov_b32_e32 v19, v60
	v_mov_b32_e32 v10, v51
	s_and_saveexec_b64 s[18:19], s[42:43]
	s_cbranch_execnz .LBB6_313
	s_branch .LBB6_321
.LBB6_300:                              ;   in Loop: Header=BB6_230 Depth=1
	v_lshrrev_b32_e32 v43, 10, v30
	v_sub_u32_e32 v52, v43, v51
	v_cmp_lt_i32_e32 vcc, 0, v52
	s_and_saveexec_b64 s[18:19], vcc
	s_cbranch_execz .LBB6_304
; %bb.301:                              ;   in Loop: Header=BB6_230 Depth=1
	s_trap 2
	ds_read_b128 v[10:13], v0
	ds_read_b64 v[44:45], v0
	v_accvgpr_read_b32 v0, a20
	v_accvgpr_read_b32 v3, a21
	v_mov_b32_e32 v38, v30
	s_waitcnt lgkmcnt(0)
	v_add_co_u32_e32 v46, vcc, v10, v0
	v_addc_co_u32_e32 v47, vcc, v11, v3, vcc
	v_add_co_u32_e32 v56, vcc, v12, v0
	v_addc_co_u32_e32 v57, vcc, v13, v3, vcc
	s_waitcnt lgkmcnt(0)
	v_add_co_u32_e32 v58, vcc, v44, v0
	v_addc_co_u32_e32 v59, vcc, v45, v3, vcc
	s_mov_b64 s[40:41], 0
.LBB6_302:                              ;   Parent Loop BB6_230 Depth=1
                                        ; =>  This Inner Loop Header: Depth=2
	global_load_dwordx4 v[14:17], v[46:47], off glc slc
	global_load_dwordx4 v[10:13], v[46:47], off offset:1024 glc slc
	global_load_dwordx4 v[22:25], v[56:57], off glc slc
	global_load_dwordx4 v[18:21], v[56:57], off offset:1024 glc slc
	v_add_co_u32_e32 v46, vcc, v46, v31
	v_addc_co_u32_e32 v47, vcc, v47, v55, vcc
	v_add_co_u32_e32 v56, vcc, v56, v31
	v_addc_co_u32_e32 v57, vcc, v57, v55, vcc
	v_sub_u32_e32 v52, v52, v26
	v_cmp_gt_i32_e32 vcc, 1, v52
	s_or_b64 s[40:41], vcc, s[40:41]
	v_accvgpr_read_b32 v26, a16
	s_waitcnt vmcnt(0)
	v_lshrrev_b32_e32 v0, 16, v14
	v_lshrrev_b32_e32 v4, 16, v15
	;; [unrolled: 1-line block ×4, first 2 shown]
	s_waitcnt vmcnt(1)
	v_lshrrev_b32_e32 v60, 16, v22
	v_lshrrev_b32_e32 v30, 16, v23
	;; [unrolled: 1-line block ×8, first 2 shown]
	v_fma_f16 v14, v44, v14, v22
	v_fma_f16 v15, v44, v15, v23
	;; [unrolled: 1-line block ×4, first 2 shown]
	s_waitcnt vmcnt(0)
	v_lshrrev_b32_e32 v22, 16, v18
	v_lshrrev_b32_e32 v23, 16, v19
	;; [unrolled: 1-line block ×4, first 2 shown]
	v_fma_f16 v10, v44, v10, v18
	v_fma_f16 v18, v44, v11, v19
	;; [unrolled: 1-line block ×8, first 2 shown]
	v_and_b32_e32 v12, 0xffff, v14
	v_and_b32_e32 v14, 0xffff, v16
	v_fma_f16 v16, v44, v33, v22
	v_fma_f16 v20, v44, v53, v23
	v_and_b32_e32 v21, 0xffff, v10
	v_fma_f16 v10, v44, v45, v24
	v_fma_f16 v3, v44, v3, v25
	v_lshlrev_b32_e32 v4, 16, v4
	v_lshlrev_b32_e32 v0, 16, v0
	;; [unrolled: 1-line block ×4, first 2 shown]
	v_and_b32_e32 v22, 0xffff, v11
	v_lshlrev_b32_e32 v20, 16, v20
	v_lshlrev_b32_e32 v16, 16, v16
	;; [unrolled: 1-line block ×4, first 2 shown]
	v_or_b32_sdwa v11, v4, v15 dst_sel:DWORD dst_unused:UNUSED_PAD src0_sel:DWORD src1_sel:WORD_0
	v_or_b32_e32 v10, v0, v12
	v_or_b32_sdwa v13, v13, v17 dst_sel:DWORD dst_unused:UNUSED_PAD src0_sel:DWORD src1_sel:WORD_0
	v_or_b32_e32 v12, v5, v14
	;; [unrolled: 2-line block ×4, first 2 shown]
	global_store_dwordx4 v[58:59], v[10:13], off glc slc
	global_store_dwordx4 v[58:59], v[14:17], off offset:1024 glc slc
	v_add_co_u32_e32 v58, vcc, v58, v31
	v_addc_co_u32_e32 v59, vcc, v59, v55, vcc
	s_andn2_b64 exec, exec, s[40:41]
	s_cbranch_execnz .LBB6_302
; %bb.303:                              ;   in Loop: Header=BB6_230 Depth=1
	s_or_b64 exec, exec, s[40:41]
	v_accvgpr_read_b32 v57, a5
	v_accvgpr_read_b32 v59, a13
	v_accvgpr_read_b32 v60, a3
	v_accvgpr_read_b32 v56, a4
	v_accvgpr_read_b32 v46, a10
	v_accvgpr_read_b32 v58, a12
	v_accvgpr_read_b32 v51, a11
	v_accvgpr_read_b32 v53, a22
	v_accvgpr_read_b32 v20, a23
	v_accvgpr_read_b32 v21, a24
	v_mov_b32_e32 v30, v38
.LBB6_304:                              ;   in Loop: Header=BB6_230 Depth=1
	s_or_b64 exec, exec, s[18:19]
	v_lshlrev_b32_e32 v22, 11, v43
	v_cmp_ne_u32_e32 vcc, v27, v22
	s_mov_b64 s[42:43], 0
	v_mov_b32_e32 v18, 0
                                        ; implicit-def: $vgpr19
                                        ; implicit-def: $vgpr10
	s_and_saveexec_b64 s[40:41], vcc
	s_cbranch_execz .LBB6_312
; %bb.305:                              ;   in Loop: Header=BB6_230 Depth=1
	v_lshlrev_b32_e32 v0, 6, v52
	v_accvgpr_read_b32 v4, a17
	v_sub_u32_e32 v0, v4, v0
	v_ashrrev_i32_e32 v4, 31, v0
	v_lshrrev_b32_e32 v4, 26, v4
	v_add_u32_e32 v4, v0, v4
	v_ashrrev_i32_e32 v5, 6, v4
	v_and_b32_e32 v4, 0xffffffc0, v4
	v_sub_u32_e32 v0, v0, v4
	v_sub_u32_e32 v3, v27, v22
	v_lshlrev_b32_e32 v4, 4, v0
	v_lshl_add_u32 v10, v5, 10, v4
	v_ashrrev_i32_e32 v4, 31, v3
	v_lshrrev_b32_e32 v4, 22, v4
	v_add_u32_e32 v4, v3, v4
	v_and_b32_e32 v23, 0xfffffc00, v4
	v_sub_u32_e32 v25, v3, v23
	v_ashrrev_i32_e32 v11, 10, v4
	v_cmp_lt_i32_e32 vcc, 15, v25
	v_sub_u32_e32 v52, v3, v10
	v_addc_co_u32_e64 v3, s[18:19], 0, v11, vcc
	v_sub_u32_e32 v24, v3, v5
	v_cmp_lt_i32_e64 s[18:19], 15, v52
	s_and_saveexec_b64 s[42:43], s[18:19]
	s_cbranch_execz .LBB6_309
; %bb.306:                              ;   in Loop: Header=BB6_230 Depth=1
	s_trap 2
	ds_read_b128 v[16:19], v0
	ds_read_b64 v[14:15], v0
	v_add_u32_e32 v3, v10, v22
	v_ashrrev_i32_e32 v4, 31, v3
	v_mov_b32_e32 v38, v30
	s_waitcnt lgkmcnt(0)
	v_add_co_u32_e64 v16, s[18:19], v16, v3
	v_addc_co_u32_e64 v17, s[18:19], v17, v4, s[18:19]
	v_add_co_u32_e64 v18, s[18:19], v18, v3
	v_addc_co_u32_e64 v19, s[18:19], v19, v4, s[18:19]
	s_waitcnt lgkmcnt(0)
	v_add_co_u32_e64 v20, s[18:19], v14, v3
	v_addc_co_u32_e64 v21, s[18:19], v15, v4, s[18:19]
	s_mov_b64 s[44:45], 0
.LBB6_307:                              ;   Parent Loop BB6_230 Depth=1
                                        ; =>  This Inner Loop Header: Depth=2
	global_load_dwordx4 v[10:13], v[16:17], off glc slc
	global_load_dwordx4 v[44:47], v[18:19], off glc slc
	v_add_co_u32_e64 v16, s[18:19], v16, v61
	v_addc_co_u32_e64 v17, s[18:19], v17, v62, s[18:19]
	v_add_co_u32_e64 v18, s[18:19], v18, v61
	v_addc_co_u32_e64 v19, s[18:19], v19, v62, s[18:19]
	v_sub_u32_e32 v52, v52, v53
	v_cmp_gt_i32_e64 s[18:19], 16, v52
	s_or_b64 s[44:45], s[18:19], s[44:45]
	v_sub_u32_e32 v24, v24, v26
	v_accvgpr_read_b32 v26, a16
	s_waitcnt vmcnt(0)
	v_lshrrev_b32_e32 v3, 16, v10
	v_lshrrev_b32_e32 v4, 16, v11
	;; [unrolled: 1-line block ×4, first 2 shown]
	s_waitcnt vmcnt(0)
	v_lshrrev_b32_e32 v30, 16, v44
	v_lshrrev_b32_e32 v32, 16, v45
	;; [unrolled: 1-line block ×4, first 2 shown]
	v_fma_f16 v10, v14, v10, v44
	v_fma_f16 v12, v14, v12, v46
	;; [unrolled: 1-line block ×8, first 2 shown]
	v_and_b32_e32 v10, 0xffff, v10
	v_and_b32_e32 v12, 0xffff, v12
	v_lshlrev_b32_e32 v4, 16, v4
	v_lshlrev_b32_e32 v3, 16, v3
	;; [unrolled: 1-line block ×4, first 2 shown]
	v_or_b32_sdwa v11, v4, v11 dst_sel:DWORD dst_unused:UNUSED_PAD src0_sel:DWORD src1_sel:WORD_0
	v_or_b32_e32 v10, v3, v10
	v_or_b32_sdwa v13, v15, v13 dst_sel:DWORD dst_unused:UNUSED_PAD src0_sel:DWORD src1_sel:WORD_0
	v_or_b32_e32 v12, v5, v12
	global_store_dwordx4 v[20:21], v[10:13], off glc slc
	v_add_co_u32_e64 v20, s[18:19], v20, v61
	v_addc_co_u32_e64 v21, s[18:19], v21, v62, s[18:19]
	s_andn2_b64 exec, exec, s[44:45]
	s_cbranch_execnz .LBB6_307
; %bb.308:                              ;   in Loop: Header=BB6_230 Depth=1
	s_or_b64 exec, exec, s[44:45]
	v_accvgpr_read_b32 v46, a10
	v_accvgpr_read_b32 v20, a23
	v_accvgpr_read_b32 v21, a24
	v_mov_b32_e32 v30, v38
.LBB6_309:                              ;   in Loop: Header=BB6_230 Depth=1
	s_or_b64 exec, exec, s[42:43]
	v_and_b32_e32 v11, 14, v27
	v_cndmask_b32_e32 v27, v25, v11, vcc
	v_cmp_ne_u32_e64 s[18:19], 0, v27
	s_mov_b64 s[42:43], 0
	v_mov_b32_e32 v18, 0
                                        ; implicit-def: $vgpr19
                                        ; implicit-def: $vgpr10
	s_and_saveexec_b64 s[44:45], s[18:19]
	s_cbranch_execz .LBB6_311
; %bb.310:                              ;   in Loop: Header=BB6_230 Depth=1
	v_sub_u32_e32 v3, v25, v11
	v_cndmask_b32_e32 v3, 0, v3, vcc
	v_cmp_lt_i32_e32 vcc, 0, v24
	v_add3_u32 v18, v23, v22, v3
	v_cndmask_b32_e32 v3, 0, v26, vcc
	v_sub_u32_e32 v3, v3, v24
	v_lshl_add_u32 v19, v3, 6, v0
	v_ashrrev_i32_e32 v0, 31, v19
	v_lshrrev_b32_e32 v0, 26, v0
	v_add_u32_e32 v0, v19, v0
	s_mov_b64 s[42:43], exec
	v_ashrrev_i32_e32 v10, 6, v0
.LBB6_311:                              ;   in Loop: Header=BB6_230 Depth=1
	s_or_b64 exec, exec, s[44:45]
	s_and_b64 s[42:43], s[42:43], exec
.LBB6_312:                              ;   in Loop: Header=BB6_230 Depth=1
	s_or_b64 exec, exec, s[40:41]
	v_accvgpr_read_b32 v23, a19
	v_accvgpr_read_b32 v22, a18
	s_and_saveexec_b64 s[18:19], s[42:43]
	s_cbranch_execz .LBB6_321
.LBB6_313:                              ;   in Loop: Header=BB6_230 Depth=1
	v_ashrrev_i32_e32 v0, 31, v27
	v_lshrrev_b32_e32 v0, 22, v0
	v_add_u32_e32 v0, v27, v0
	v_ashrrev_i32_e32 v4, 10, v0
	v_sub_u32_e32 v0, v4, v10
	v_ashrrev_i32_e32 v3, 31, v19
	v_cmp_lt_i32_e32 vcc, 0, v0
	v_lshrrev_b32_e32 v3, 26, v3
	s_and_saveexec_b64 s[40:41], vcc
	s_cbranch_execz .LBB6_317
; %bb.314:                              ;   in Loop: Header=BB6_230 Depth=1
	s_trap 2
	v_accvgpr_write_b32 a26, v3
	v_add_u32_e32 v3, v19, v3
	ds_read_b128 v[12:15], v0
	v_and_b32_e32 v3, 0x7fffffc0, v3
	v_sub_u32_e32 v3, v19, v3
	v_accvgpr_write_b32 a27, v4
	v_lshlrev_b32_e32 v3, 1, v3
	v_lshlrev_b32_e32 v4, 10, v10
	ds_read_b64 v[10:11], v0
	v_add3_u32 v3, v3, v18, v4
	v_ashrrev_i32_e32 v4, 31, v3
	s_waitcnt lgkmcnt(0)
	v_add_co_u32_e32 v12, vcc, v12, v3
	v_addc_co_u32_e32 v13, vcc, v13, v4, vcc
	v_add_co_u32_e32 v14, vcc, v14, v3
	v_addc_co_u32_e32 v15, vcc, v15, v4, vcc
	s_waitcnt lgkmcnt(0)
	v_add_co_u32_e32 v5, vcc, 0x380, v10
	v_addc_co_u32_e32 v11, vcc, 0, v11, vcc
	v_accvgpr_write_b32 a14, v48
	v_add_co_u32_e32 v16, vcc, v5, v3
	v_accvgpr_write_b32 a25, v30
	v_accvgpr_write_b32 a15, v49
	v_addc_co_u32_e32 v17, vcc, v11, v4, vcc
	s_mov_b64 s[42:43], 0
	v_mov_b32_e32 v38, v26
.LBB6_315:                              ;   Parent Loop BB6_230 Depth=1
                                        ; =>  This Inner Loop Header: Depth=2
	flat_load_ushort v3, v[12:13] glc slc
	flat_load_ushort v4, v[12:13] offset:128 glc slc
	flat_load_ushort v5, v[12:13] offset:256 glc slc
	;; [unrolled: 1-line block ×7, first 2 shown]
	flat_load_ushort v51, v[14:15] glc slc
	flat_load_ushort v43, v[14:15] offset:128 glc slc
	flat_load_ushort v60, v[14:15] offset:256 glc slc
	;; [unrolled: 1-line block ×7, first 2 shown]
	v_add_co_u32_e32 v22, vcc, s61, v16
	v_addc_co_u32_e32 v23, vcc, -1, v17, vcc
	v_add_co_u32_e32 v24, vcc, s63, v16
	v_addc_co_u32_e32 v25, vcc, -1, v17, vcc
	;; [unrolled: 2-line block ×7, first 2 shown]
	v_add_co_u32_e32 v12, vcc, v12, v61
	v_addc_co_u32_e32 v13, vcc, v13, v62, vcc
	v_add_co_u32_e32 v14, vcc, v14, v61
	v_addc_co_u32_e32 v15, vcc, v15, v62, vcc
	v_sub_u32_e32 v0, v0, v38
	v_cmp_gt_i32_e32 vcc, 1, v0
	s_or_b64 s[42:43], vcc, s[42:43]
	s_waitcnt vmcnt(0) lgkmcnt(0)
	v_fma_f16 v3, v3, v10, v51
	v_fma_f16 v4, v4, v10, v43
	;; [unrolled: 1-line block ×8, first 2 shown]
	flat_store_short v[22:23], v3 glc slc
	flat_store_short v[24:25], v4 glc slc
	flat_store_short v[44:45], v5 glc slc
	flat_store_short v[46:47], v11 glc slc
	flat_store_short v[56:57], v20 glc slc
	flat_store_short v[58:59], v21 glc slc
	flat_store_short v[52:53], v26 glc slc
	flat_store_short v[16:17], v30 glc slc
	v_add_co_u32_e32 v16, vcc, v16, v61
	v_addc_co_u32_e32 v17, vcc, v17, v62, vcc
	s_andn2_b64 exec, exec, s[42:43]
	s_cbranch_execnz .LBB6_315
; %bb.316:                              ;   in Loop: Header=BB6_230 Depth=1
	s_or_b64 exec, exec, s[42:43]
	v_accvgpr_read_b32 v57, a5
	v_accvgpr_read_b32 v59, a13
	;; [unrolled: 1-line block ×10, first 2 shown]
	v_mov_b32_e32 v26, v38
	v_accvgpr_read_b32 v51, a11
	v_accvgpr_read_b32 v53, a22
	v_accvgpr_read_b32 v20, a23
	v_accvgpr_read_b32 v21, a24
	v_accvgpr_read_b32 v30, a25
	v_accvgpr_read_b32 v3, a26
	v_accvgpr_read_b32 v4, a27
.LBB6_317:                              ;   in Loop: Header=BB6_230 Depth=1
	s_or_b64 exec, exec, s[40:41]
	v_lshlrev_b32_e32 v10, 10, v4
	v_cmp_ne_u32_e32 vcc, v27, v10
	s_and_b64 exec, exec, vcc
	s_cbranch_execz .LBB6_321
; %bb.318:                              ;   in Loop: Header=BB6_230 Depth=1
	v_add_u32_e32 v3, v19, v3
	v_and_b32_e32 v3, 0xffffffc0, v3
	v_sub_u32_e32 v3, v19, v3
	v_lshlrev_b32_e32 v0, 6, v0
	v_sub_u32_e32 v0, v3, v0
	v_ashrrev_i32_e32 v3, 31, v0
	v_lshrrev_b32_e32 v3, 26, v3
	v_add_u32_e32 v3, v0, v3
	v_and_b32_e32 v4, 0x7fffffc0, v3
	v_sub_u32_e32 v0, v0, v4
	v_lshlrev_b32_e32 v3, 1, v3
	v_and_b32_e32 v3, 0xffffff80, v3
	v_lshlrev_b32_e32 v0, 1, v0
	v_add3_u32 v10, v3, v0, v10
	v_sub_u32_e32 v0, v27, v10
	v_cmp_lt_i32_e32 vcc, 1, v0
	s_and_b64 exec, exec, vcc
	s_cbranch_execz .LBB6_321
; %bb.319:                              ;   in Loop: Header=BB6_230 Depth=1
	s_trap 2
	ds_read_b128 v[12:15], v0
	v_add_u32_e32 v3, v10, v18
	ds_read_b64 v[10:11], v0
	v_ashrrev_i32_e32 v4, 31, v3
	s_mov_b64 s[40:41], 0
	s_waitcnt lgkmcnt(0)
	v_add_co_u32_e32 v12, vcc, v12, v3
	v_addc_co_u32_e32 v13, vcc, v13, v4, vcc
	v_add_co_u32_e32 v14, vcc, v14, v3
	v_addc_co_u32_e32 v15, vcc, v15, v4, vcc
	;; [unrolled: 2-line block ×3, first 2 shown]
.LBB6_320:                              ;   Parent Loop BB6_230 Depth=1
                                        ; =>  This Inner Loop Header: Depth=2
	flat_load_ushort v3, v[12:13] glc slc
	flat_load_ushort v4, v[14:15] glc slc
	v_add_co_u32_e32 v12, vcc, v12, v21
	v_addc_co_u32_e32 v13, vcc, v13, v54, vcc
	v_add_co_u32_e32 v14, vcc, v14, v21
	v_addc_co_u32_e32 v15, vcc, v15, v54, vcc
	v_sub_u32_e32 v0, v0, v20
	v_cmp_gt_i32_e32 vcc, 2, v0
	s_or_b64 s[40:41], vcc, s[40:41]
	s_waitcnt vmcnt(0) lgkmcnt(0)
	v_fma_f16 v3, v3, v10, v4
	flat_store_short v[16:17], v3 glc slc
	v_add_co_u32_e32 v16, vcc, v16, v21
	v_addc_co_u32_e32 v17, vcc, v17, v54, vcc
	s_andn2_b64 exec, exec, s[40:41]
	s_cbranch_execnz .LBB6_320
.LBB6_321:                              ;   in Loop: Header=BB6_230 Depth=1
	s_or_b64 exec, exec, s[18:19]
	v_cmp_ne_u32_e64 s[18:19], 0, v30
.LBB6_322:                              ;   in Loop: Header=BB6_230 Depth=1
	s_and_saveexec_b64 s[40:41], s[10:11]
	s_cbranch_execz .LBB6_341
; %bb.323:                              ;   in Loop: Header=BB6_230 Depth=1
	s_and_saveexec_b64 vcc, s[28:29]
	s_xor_b64 s[42:43], exec, vcc
	s_cbranch_execz .LBB6_338
; %bb.324:                              ;   in Loop: Header=BB6_230 Depth=1
	s_and_saveexec_b64 s[44:45], s[12:13]
	s_cbranch_execz .LBB6_337
; %bb.325:                              ;   in Loop: Header=BB6_230 Depth=1
	s_mov_b64 s[48:49], exec
	v_mbcnt_lo_u32_b32 v0, s48, 0
	v_mbcnt_hi_u32_b32 v0, s49, v0
	v_cmp_eq_u32_e32 vcc, 0, v0
	s_waitcnt vmcnt(0) lgkmcnt(0)
	buffer_wbinvl1_vol
	s_and_saveexec_b64 s[46:47], vcc
	s_cbranch_execz .LBB6_327
; %bb.326:                              ;   in Loop: Header=BB6_230 Depth=1
	s_bcnt1_i32_b64 vcc_lo, s[48:49]
	v_mov_b32_e32 v38, vcc_lo
	ds_add_u64 v0, v[38:39]
	s_trap 2
.LBB6_327:                              ;   in Loop: Header=BB6_230 Depth=1
	s_or_b64 exec, exec, s[46:47]
	s_trap 2
	ds_read_b64 v[10:11], v0
	v_add_co_u32_e32 v36, vcc, v36, v26
	v_addc_co_u32_e32 v37, vcc, 0, v37, vcc
	s_waitcnt lgkmcnt(0)
	v_cmp_lt_u64_e32 vcc, v[10:11], v[36:37]
	s_and_saveexec_b64 s[46:47], vcc
	s_cbranch_execz .LBB6_336
; %bb.328:                              ;   in Loop: Header=BB6_230 Depth=1
	s_mov_b32 s68, 0
	s_mov_b64 s[48:49], 0
                                        ; implicit-def: $sgpr50_sgpr51
                                        ; implicit-def: $sgpr52_sgpr53
	s_branch .LBB6_330
.LBB6_329:                              ;   in Loop: Header=BB6_330 Depth=2
	s_or_b64 exec, exec, s[56:57]
	s_and_b64 vcc, exec, vcc
	s_or_b64 s[48:49], vcc, s[48:49]
	s_andn2_b64 vcc, s[50:51], exec
	s_and_b64 s[50:51], s[52:53], exec
	s_or_b64 s[50:51], vcc, s[50:51]
	s_andn2_b64 exec, exec, s[48:49]
	s_cbranch_execz .LBB6_334
.LBB6_330:                              ;   Parent Loop BB6_230 Depth=1
                                        ; =>  This Inner Loop Header: Depth=2
	s_add_i32 s68, s68, 1
	s_cmpk_lg_i32 s68, 0x2710
	s_cselect_b64 s[54:55], -1, 0
	s_and_b64 vcc, exec, s[54:55]
                                        ; implicit-def: $sgpr56_sgpr57
	s_cbranch_vccnz .LBB6_332
; %bb.331:                              ;   in Loop: Header=BB6_330 Depth=2
	s_trap 2
	ds_read_b64 v[10:11], v0
	s_andn2_b64 s[54:55], s[54:55], exec
	s_mov_b32 s68, 0
	s_mov_b64 s[56:57], -1
	s_waitcnt lgkmcnt(0)
	flat_load_dword v0, v[10:11] glc
	s_waitcnt vmcnt(0) lgkmcnt(0)
	buffer_invl2
	buffer_wbinvl1_vol
	v_cmp_eq_u32_e32 vcc, 0, v0
	s_and_b64 vcc, vcc, exec
	s_or_b64 s[54:55], s[54:55], vcc
.LBB6_332:                              ;   in Loop: Header=BB6_330 Depth=2
	s_andn2_b64 s[52:53], s[52:53], exec
	s_and_b64 s[56:57], s[56:57], exec
	s_mov_b64 vcc, -1
	s_or_b64 s[52:53], s[52:53], s[56:57]
	s_and_saveexec_b64 s[56:57], s[54:55]
	s_cbranch_execz .LBB6_329
; %bb.333:                              ;   in Loop: Header=BB6_330 Depth=2
	s_sleep 1
	s_trap 2
	ds_read_b64 v[10:11], v0
	s_andn2_b64 s[52:53], s[52:53], exec
	s_waitcnt lgkmcnt(0)
	v_cmp_ge_u64_e32 vcc, v[10:11], v[36:37]
	s_orn2_b64 vcc, vcc, exec
	s_branch .LBB6_329
.LBB6_334:                              ;   in Loop: Header=BB6_230 Depth=1
	s_or_b64 exec, exec, s[48:49]
	s_and_saveexec_b64 vcc, s[50:51]
	s_xor_b64 vcc, exec, vcc
	s_cbranch_execz .LBB6_336
; %bb.335:                              ;   in Loop: Header=BB6_230 Depth=1
	v_mov_b32_e32 v0, 1
	ds_write_b32 v0, v0
	s_trap 2
.LBB6_336:                              ;   in Loop: Header=BB6_230 Depth=1
	s_or_b64 exec, exec, s[46:47]
	;;#ASMSTART
	s_wakeup
	;;#ASMEND
.LBB6_337:                              ;   in Loop: Header=BB6_230 Depth=1
	s_or_b64 exec, exec, s[44:45]
.LBB6_338:                              ;   in Loop: Header=BB6_230 Depth=1
	s_andn2_saveexec_b64 vcc, s[42:43]
	s_cbranch_execz .LBB6_340
; %bb.339:                              ;   in Loop: Header=BB6_230 Depth=1
	s_waitcnt vmcnt(0) lgkmcnt(0)
	buffer_wbinvl1_vol
	s_barrier
.LBB6_340:                              ;   in Loop: Header=BB6_230 Depth=1
	s_or_b64 exec, exec, vcc
.LBB6_341:                              ;   in Loop: Header=BB6_230 Depth=1
	s_or_b64 exec, exec, s[40:41]
	v_and_b32_e32 v0, 16, v2
	v_cmp_ne_u32_e32 vcc, 0, v0
	s_and_b64 vcc, vcc, s[18:19]
	s_and_saveexec_b64 s[18:19], vcc
	s_cbranch_execz .LBB6_343
; %bb.342:                              ;   in Loop: Header=BB6_230 Depth=1
	s_waitcnt vmcnt(0) lgkmcnt(0)
	buffer_wbinvl1_vol
.LBB6_343:                              ;   in Loop: Header=BB6_230 Depth=1
	s_or_b64 exec, exec, s[18:19]
	v_and_b32_e32 v0, 32, v2
	v_cmp_ne_u32_e32 vcc, 0, v0
	s_and_saveexec_b64 s[18:19], vcc
	s_cbranch_execz .LBB6_345
; %bb.344:                              ;   in Loop: Header=BB6_230 Depth=1
	v_add_co_u32_e32 v8, vcc, 1, v8
	v_addc_co_u32_e32 v9, vcc, 0, v9, vcc
	flat_store_dwordx2 v[28:29], v[8:9]
.LBB6_345:                              ;   in Loop: Header=BB6_230 Depth=1
	s_or_b64 exec, exec, s[18:19]
	v_mov_b32_e32 v14, v1
.LBB6_346:                              ;   in Loop: Header=BB6_230 Depth=1
	s_or_b64 exec, exec, s[38:39]
	s_and_saveexec_b64 s[38:39], s[36:37]
	s_cbranch_execz .LBB6_229
; %bb.347:                              ;   in Loop: Header=BB6_230 Depth=1
	v_and_b32_e32 v0, 4, v2
	v_cmp_ne_u32_e32 vcc, 0, v0
	s_mov_b64 s[36:37], -1
	s_and_saveexec_b64 s[18:19], vcc
	s_cbranch_execnz .LBB6_350
; %bb.348:                              ;   in Loop: Header=BB6_230 Depth=1
	s_or_b64 exec, exec, s[18:19]
	s_xor_b64 s[18:19], s[36:37], -1
	s_and_saveexec_b64 s[36:37], s[18:19]
	s_cbranch_execnz .LBB6_361
.LBB6_349:                              ;   in Loop: Header=BB6_230 Depth=1
	s_or_b64 exec, exec, s[36:37]
	s_and_saveexec_b64 s[18:19], s[10:11]
	s_cbranch_execnz .LBB6_370
	s_branch .LBB6_388
.LBB6_350:                              ;   in Loop: Header=BB6_230 Depth=1
	v_add_co_u32_e32 v10, vcc, 1, v8
	v_addc_co_u32_e32 v11, vcc, 0, v9, vcc
	v_cmp_lt_u64_e32 vcc, v[34:35], v[10:11]
	v_mov_b32_e32 v0, 1
	s_and_saveexec_b64 s[36:37], vcc
	s_cbranch_execz .LBB6_360
; %bb.351:                              ;   in Loop: Header=BB6_230 Depth=1
	s_mov_b64 s[40:41], 0
	v_mov_b32_e32 v0, 0
                                        ; implicit-def: $sgpr42_sgpr43
	s_branch .LBB6_355
.LBB6_352:                              ;   in Loop: Header=BB6_355 Depth=2
	s_or_b64 exec, exec, s[50:51]
	v_mov_b32_e32 v12, 0
	s_orn2_b64 s[48:49], s[48:49], exec
.LBB6_353:                              ;   in Loop: Header=BB6_355 Depth=2
	s_or_b64 exec, exec, s[46:47]
	s_andn2_b64 vcc, s[42:43], exec
	s_and_b64 s[42:43], s[48:49], exec
	s_or_b64 s[42:43], vcc, s[42:43]
	v_mov_b32_e32 v0, v12
.LBB6_354:                              ;   in Loop: Header=BB6_355 Depth=2
	s_or_b64 exec, exec, s[44:45]
	s_waitcnt vmcnt(0) lgkmcnt(0)
	v_cmp_ge_u64_e32 vcc, v[34:35], v[10:11]
	s_xor_b64 s[44:45], s[42:43], -1
	s_or_b64 vcc, s[44:45], vcc
	s_and_b64 vcc, exec, vcc
	s_or_b64 s[40:41], vcc, s[40:41]
	s_andn2_b64 exec, exec, s[40:41]
	s_cbranch_execz .LBB6_359
.LBB6_355:                              ;   Parent Loop BB6_230 Depth=1
                                        ; =>  This Inner Loop Header: Depth=2
	s_sleep 1
	flat_load_dwordx2 v[34:35], v[28:29] glc
	v_and_b32_e32 v3, 64, v2
	v_cmp_eq_u32_e32 vcc, 0, v3
	s_andn2_b64 s[42:43], s[42:43], exec
	s_and_saveexec_b64 s[44:45], vcc
	s_cbranch_execz .LBB6_354
; %bb.356:                              ;   in Loop: Header=BB6_355 Depth=2
	v_add_u32_e32 v12, 1, v0
	v_cmp_lt_i32_e32 vcc, s60, v0
	s_mov_b64 s[48:49], -1
	s_and_saveexec_b64 s[46:47], vcc
	s_cbranch_execz .LBB6_353
; %bb.357:                              ;   in Loop: Header=BB6_355 Depth=2
	s_trap 2
	ds_read_b64 v[12:13], v0
	s_waitcnt vmcnt(0) lgkmcnt(0)
	flat_load_dword v0, v[12:13] glc
	s_waitcnt vmcnt(0) lgkmcnt(0)
	buffer_invl2
	buffer_wbinvl1_vol
	v_cmp_ne_u32_e32 vcc, 0, v0
	s_and_saveexec_b64 s[50:51], vcc
	s_cbranch_execz .LBB6_352
; %bb.358:                              ;   in Loop: Header=BB6_355 Depth=2
	v_or_b32_e32 v2, 64, v2
	s_xor_b64 s[48:49], exec, -1
	ds_write_b32 v0, v0
	s_trap 2
	s_branch .LBB6_352
.LBB6_359:                              ;   in Loop: Header=BB6_230 Depth=1
	s_or_b64 exec, exec, s[40:41]
	v_and_b32_e32 v0, 4, v2
.LBB6_360:                              ;   in Loop: Header=BB6_230 Depth=1
	s_or_b64 exec, exec, s[36:37]
	v_cmp_eq_u32_e32 vcc, 0, v0
	s_orn2_b64 s[36:37], vcc, exec
	;;#ASMSTART
	s_wakeup
	;;#ASMEND
	s_or_b64 exec, exec, s[18:19]
	s_xor_b64 s[18:19], s[36:37], -1
	s_and_saveexec_b64 s[36:37], s[18:19]
	s_cbranch_execz .LBB6_349
.LBB6_361:                              ;   in Loop: Header=BB6_230 Depth=1
	v_and_b32_e32 v0, 0x100, v2
	v_cmp_ne_u32_e32 vcc, 0, v0
	v_and_b32_e32 v0, 7, v8
	s_mov_b64 s[18:19], -1
                                        ; implicit-def: $vgpr10_vgpr11
	s_and_saveexec_b64 s[40:41], vcc
	s_cbranch_execz .LBB6_365
; %bb.362:                              ;   in Loop: Header=BB6_230 Depth=1
	v_mad_u64_u32 v[12:13], s[18:19], v0, 24, v[6:7]
	flat_load_dword v3, v[12:13]
                                        ; implicit-def: $vgpr10_vgpr11
	s_waitcnt vmcnt(0) lgkmcnt(0)
	v_cmp_ne_u32_e32 vcc, 1, v3
	v_cmp_eq_u32_e64 s[18:19], 1, v3
	s_and_saveexec_b64 s[42:43], s[18:19]
	s_cbranch_execz .LBB6_364
; %bb.363:                              ;   in Loop: Header=BB6_230 Depth=1
	flat_load_dword v10, v[12:13] offset:4 glc
	s_waitcnt vmcnt(0) lgkmcnt(0)
	v_ashrrev_i32_e32 v11, 31, v10
	v_lshrrev_b64 v[10:11], 1, v[10:11]
.LBB6_364:                              ;   in Loop: Header=BB6_230 Depth=1
	s_or_b64 exec, exec, s[42:43]
	s_orn2_b64 s[18:19], vcc, exec
.LBB6_365:                              ;   in Loop: Header=BB6_230 Depth=1
	s_or_b64 exec, exec, s[40:41]
	s_and_saveexec_b64 vcc, s[18:19]
; %bb.366:                              ;   in Loop: Header=BB6_230 Depth=1
	v_mad_i64_i32 v[10:11], s[18:19], v0, v46, 0
; %bb.367:                              ;   in Loop: Header=BB6_230 Depth=1
	s_or_b64 exec, exec, vcc
	v_lshlrev_b64 v[10:11], 1, v[10:11]
	v_add_co_u32_e32 v10, vcc, v58, v10
	v_addc_co_u32_e32 v11, vcc, v59, v11, vcc
	ds_write_b64 v0, v[10:11] offset:728
	v_and_b32_e32 v0, 0x2000, v2
	v_cmp_ne_u32_e32 vcc, 0, v0
	s_and_saveexec_b64 s[18:19], vcc
	s_cbranch_execz .LBB6_369
; %bb.368:                              ;   in Loop: Header=BB6_230 Depth=1
	ds_read_b64 v[10:11], v0 offset:584
	s_waitcnt lgkmcnt(0)
	v_add_co_u32_e32 v10, vcc, 1, v10
	v_addc_co_u32_e32 v11, vcc, 0, v11, vcc
	ds_write_b64 v0, v[10:11] offset:584
.LBB6_369:                              ;   in Loop: Header=BB6_230 Depth=1
	s_or_b64 exec, exec, s[18:19]
	v_add_co_u32_e32 v8, vcc, 1, v8
	v_addc_co_u32_e32 v9, vcc, 0, v9, vcc
	s_or_b64 exec, exec, s[36:37]
	s_and_saveexec_b64 s[18:19], s[10:11]
	s_cbranch_execz .LBB6_388
.LBB6_370:                              ;   in Loop: Header=BB6_230 Depth=1
	s_and_saveexec_b64 vcc, s[28:29]
	s_xor_b64 s[36:37], exec, vcc
	s_cbranch_execz .LBB6_385
; %bb.371:                              ;   in Loop: Header=BB6_230 Depth=1
	s_and_saveexec_b64 s[40:41], s[12:13]
	s_cbranch_execz .LBB6_384
; %bb.372:                              ;   in Loop: Header=BB6_230 Depth=1
	s_mov_b64 s[44:45], exec
	v_mbcnt_lo_u32_b32 v0, s44, 0
	v_mbcnt_hi_u32_b32 v0, s45, v0
	v_cmp_eq_u32_e32 vcc, 0, v0
	s_waitcnt vmcnt(0) lgkmcnt(0)
	buffer_wbinvl1_vol
	s_and_saveexec_b64 s[42:43], vcc
	s_cbranch_execz .LBB6_374
; %bb.373:                              ;   in Loop: Header=BB6_230 Depth=1
	s_bcnt1_i32_b64 vcc_lo, s[44:45]
	v_mov_b32_e32 v38, vcc_lo
	ds_add_u64 v0, v[38:39]
	s_trap 2
.LBB6_374:                              ;   in Loop: Header=BB6_230 Depth=1
	s_or_b64 exec, exec, s[42:43]
	s_trap 2
	ds_read_b64 v[10:11], v0
	v_add_co_u32_e32 v36, vcc, v36, v26
	v_addc_co_u32_e32 v37, vcc, 0, v37, vcc
	s_waitcnt lgkmcnt(0)
	v_cmp_lt_u64_e32 vcc, v[10:11], v[36:37]
	s_and_saveexec_b64 s[42:43], vcc
	s_cbranch_execz .LBB6_383
; %bb.375:                              ;   in Loop: Header=BB6_230 Depth=1
	s_mov_b32 s54, 0
	s_mov_b64 s[44:45], 0
                                        ; implicit-def: $sgpr46_sgpr47
                                        ; implicit-def: $sgpr48_sgpr49
	s_branch .LBB6_377
.LBB6_376:                              ;   in Loop: Header=BB6_377 Depth=2
	s_or_b64 exec, exec, s[52:53]
	s_and_b64 vcc, exec, vcc
	s_or_b64 s[44:45], vcc, s[44:45]
	s_andn2_b64 vcc, s[46:47], exec
	s_and_b64 s[46:47], s[48:49], exec
	s_or_b64 s[46:47], vcc, s[46:47]
	s_andn2_b64 exec, exec, s[44:45]
	s_cbranch_execz .LBB6_381
.LBB6_377:                              ;   Parent Loop BB6_230 Depth=1
                                        ; =>  This Inner Loop Header: Depth=2
	s_add_i32 s54, s54, 1
	s_cmpk_lg_i32 s54, 0x2710
	s_cselect_b64 s[50:51], -1, 0
	s_and_b64 vcc, exec, s[50:51]
                                        ; implicit-def: $sgpr52_sgpr53
	s_cbranch_vccnz .LBB6_379
; %bb.378:                              ;   in Loop: Header=BB6_377 Depth=2
	s_trap 2
	ds_read_b64 v[10:11], v0
	s_andn2_b64 s[50:51], s[50:51], exec
	s_mov_b32 s54, 0
	s_mov_b64 s[52:53], -1
	s_waitcnt lgkmcnt(0)
	flat_load_dword v0, v[10:11] glc
	s_waitcnt vmcnt(0) lgkmcnt(0)
	buffer_invl2
	buffer_wbinvl1_vol
	v_cmp_eq_u32_e32 vcc, 0, v0
	s_and_b64 vcc, vcc, exec
	s_or_b64 s[50:51], s[50:51], vcc
.LBB6_379:                              ;   in Loop: Header=BB6_377 Depth=2
	s_andn2_b64 s[48:49], s[48:49], exec
	s_and_b64 s[52:53], s[52:53], exec
	s_mov_b64 vcc, -1
	s_or_b64 s[48:49], s[48:49], s[52:53]
	s_and_saveexec_b64 s[52:53], s[50:51]
	s_cbranch_execz .LBB6_376
; %bb.380:                              ;   in Loop: Header=BB6_377 Depth=2
	s_sleep 1
	s_trap 2
	ds_read_b64 v[10:11], v0
	s_andn2_b64 s[48:49], s[48:49], exec
	s_waitcnt lgkmcnt(0)
	v_cmp_ge_u64_e32 vcc, v[10:11], v[36:37]
	s_orn2_b64 vcc, vcc, exec
	s_branch .LBB6_376
.LBB6_381:                              ;   in Loop: Header=BB6_230 Depth=1
	s_or_b64 exec, exec, s[44:45]
	s_and_saveexec_b64 vcc, s[46:47]
	s_xor_b64 vcc, exec, vcc
	s_cbranch_execz .LBB6_383
; %bb.382:                              ;   in Loop: Header=BB6_230 Depth=1
	v_mov_b32_e32 v0, 1
	ds_write_b32 v0, v0
	s_trap 2
.LBB6_383:                              ;   in Loop: Header=BB6_230 Depth=1
	s_or_b64 exec, exec, s[42:43]
	;;#ASMSTART
	s_wakeup
	;;#ASMEND
.LBB6_384:                              ;   in Loop: Header=BB6_230 Depth=1
	s_or_b64 exec, exec, s[40:41]
.LBB6_385:                              ;   in Loop: Header=BB6_230 Depth=1
	s_andn2_saveexec_b64 vcc, s[36:37]
	s_cbranch_execz .LBB6_387
; %bb.386:                              ;   in Loop: Header=BB6_230 Depth=1
	s_waitcnt vmcnt(0) lgkmcnt(0)
	buffer_wbinvl1_vol
	s_barrier
.LBB6_387:                              ;   in Loop: Header=BB6_230 Depth=1
	s_or_b64 exec, exec, vcc
.LBB6_388:                              ;   in Loop: Header=BB6_230 Depth=1
	s_or_b64 exec, exec, s[18:19]
	s_trap 2
	ds_read_b32 v0, v0
	v_sub_u32_e32 v3, v42, v14
	v_min_i32_e32 v1, v1, v3
	v_cmp_lt_i32_e32 vcc, 0, v1
	s_waitcnt lgkmcnt(0)
	v_readfirstlane_b32 s18, v0
	s_cmp_eq_u32 s18, 0
	s_cselect_b64 s[18:19], -1, 0
	v_and_b32_e32 v0, 16, v2
	s_and_b64 s[18:19], vcc, s[18:19]
	v_cmp_ne_u32_e32 vcc, 0, v0
	s_and_b64 vcc, vcc, s[18:19]
	s_and_saveexec_b64 s[18:19], vcc
	s_cbranch_execz .LBB6_390
; %bb.389:                              ;   in Loop: Header=BB6_230 Depth=1
	s_waitcnt vmcnt(0)
	buffer_wbinvl1_vol
.LBB6_390:                              ;   in Loop: Header=BB6_230 Depth=1
	s_or_b64 exec, exec, s[18:19]
	v_and_b32_e32 v0, 32, v2
	v_cmp_ne_u32_e32 vcc, 0, v0
	s_and_saveexec_b64 s[18:19], vcc
	s_cbranch_execz .LBB6_228
; %bb.391:                              ;   in Loop: Header=BB6_230 Depth=1
	v_add_co_u32_e32 v8, vcc, 1, v8
	v_addc_co_u32_e32 v9, vcc, 0, v9, vcc
	flat_store_dwordx2 v[28:29], v[8:9]
	s_branch .LBB6_228
.LBB6_392:
	s_or_b64 exec, exec, s[30:31]
	v_accvgpr_read_b32 v27, a9
	v_accvgpr_read_b32 v24, a0
	;; [unrolled: 1-line block ×5, first 2 shown]
.LBB6_393:
	s_or_b64 exec, exec, s[22:23]
.LBB6_394:
	s_or_b64 exec, exec, s[20:21]
                                        ; implicit-def: $vgpr48_vgpr49
                                        ; implicit-def: $vgpr56_vgpr57
                                        ; implicit-def: $vgpr32_vgpr33
                                        ; implicit-def: $vgpr46
                                        ; implicit-def: $vgpr34_vgpr35
                                        ; implicit-def: $vgpr58_vgpr59
                                        ; implicit-def: $vgpr28_vgpr29
                                        ; implicit-def: $vgpr60
                                        ; implicit-def: $vgpr1
                                        ; implicit-def: $vgpr22_vgpr23
.LBB6_395:
	s_andn2_saveexec_b64 s[22:23], s[26:27]
	s_cbranch_execz .LBB6_568
; %bb.396:
	s_mov_b64 s[28:29], 0
	v_cmp_ne_u64_e32 vcc, 0, v[56:57]
	v_pk_mov_b32 v[36:37], 0, 0
	s_and_saveexec_b64 s[26:27], vcc
	s_cbranch_execz .LBB6_567
; %bb.397:
	v_and_b32_e32 v0, 63, v31
	v_cmp_eq_u32_e64 s[12:13], 0, v0
	v_ashrrev_i32_e32 v0, 31, v60
	v_lshrrev_b32_e32 v0, 26, v0
	v_add_u32_e32 v0, v60, v0
	v_and_b32_e32 v3, 0xffffffc0, v0
	v_ashrrev_i32_e32 v47, 6, v0
	v_sub_u32_e32 v3, v60, v3
	v_lshlrev_b32_e32 v0, 12, v47
	v_lshrrev_b32_e32 v52, 6, v24
	v_lshl_add_u32 v16, v3, 4, v0
	v_mov_b32_e32 v0, 0xfffff000
	v_lshl_add_u32 v0, v52, 12, v0
	s_movk_i32 s18, 0x1000
	v_accvgpr_write_b32 a1, v31
	v_cmp_lt_i32_e64 s[16:17], v3, v1
	v_ashrrev_i32_e32 v1, 31, v0
	v_add_co_u32_e64 v31, s[18:19], s18, v0
	v_addc_co_u32_e64 v41, s[18:19], 0, v1, s[18:19]
	v_lshlrev_b32_e32 v61, 10, v52
	v_add_u32_e32 v1, 0xfffffc00, v61
	s_movk_i32 s18, 0x400
	s_waitcnt vmcnt(0)
	v_ashrrev_i32_e32 v10, 31, v1
	v_add_co_u32_e64 v62, s[18:19], s18, v1
	v_addc_co_u32_e64 v30, s[18:19], 0, v10, s[18:19]
	v_mov_b32_e32 v1, 0xfffff800
	v_lshl_add_u32 v1, v52, 11, v1
	s_movk_i32 s18, 0x800
	v_ashrrev_i32_e32 v10, 31, v1
	v_pk_mov_b32 v[4:5], v[48:49], v[48:49] op_sel:[0,1]
	v_add_co_u32_e64 v48, s[18:19], s18, v1
	v_addc_co_u32_e64 v49, s[18:19], 0, v10, s[18:19]
	v_lshlrev_b32_e32 v51, 7, v52
	v_add_u32_e32 v1, 0xffffff80, v51
	s_movk_i32 s18, 0x80
	s_lshr_b32 s6, s62, 27
	v_ashrrev_i32_e32 v10, 31, v1
	v_add_co_u32_e64 v53, s[18:19], s18, v1
	v_lshlrev_b64 v[0:1], 1, v[4:5]
	v_accvgpr_write_b32 a8, v26
	s_add_i32 s62, s62, s6
	v_cmp_eq_u32_e32 vcc, 64, v24
	v_addc_co_u32_e64 v55, s[18:19], 0, v10, s[18:19]
	v_pk_mov_b32 v[42:43], 0, 0
	v_accvgpr_write_b32 a27, v1
	s_waitcnt lgkmcnt(0)
	v_accvgpr_write_b32 a14, v32
	v_accvgpr_write_b32 a18, v22
	;; [unrolled: 1-line block ×3, first 2 shown]
	s_ashr_i32 s58, s62, 5
	v_cmp_ge_i32_e64 s[6:7], v60, v24
	v_cmp_ne_u32_e64 s[10:11], 64, v24
	v_accvgpr_write_b32 a2, v19
	v_cmp_ne_u32_sdwa s[30:31], v19, v24 src0_sel:WORD_0 src1_sel:DWORD
	v_accvgpr_write_b32 a0, v24
	v_mov_b32_e32 v25, 0
	v_cmp_gt_i32_e64 s[14:15], 1, v3
	v_accvgpr_write_b32 a16, v3
	v_ashrrev_i32_e32 v39, 31, v16
	v_cmp_ne_u64_e64 s[18:19], 0, v[32:33]
	s_movk_i32 s59, 0x270e
	v_mov_b32_e32 v40, 1
	s_xor_b64 s[34:35], vcc, -1
	v_accvgpr_write_b32 a26, v0
	v_pk_mov_b32 v[36:37], v[42:43], v[42:43] op_sel:[0,1]
	v_accvgpr_write_b32 a15, v33
	v_accvgpr_write_b32 a19, v23
	v_mov_b32_e32 v38, v16
	v_accvgpr_write_b32 a22, v30
	v_accvgpr_write_b32 a23, v51
	;; [unrolled: 1-line block ×4, first 2 shown]
	s_trap 2
	s_branch .LBB6_401
.LBB6_398:                              ;   in Loop: Header=BB6_401 Depth=1
	s_or_b64 exec, exec, vcc
	v_add_co_u32_e32 v8, vcc, 1, v8
	v_addc_co_u32_e32 v9, vcc, 0, v9, vcc
	flat_store_dwordx2 v[28:29], v[8:9]
.LBB6_399:                              ;   in Loop: Header=BB6_401 Depth=1
	s_or_b64 exec, exec, s[20:21]
.LBB6_400:                              ;   in Loop: Header=BB6_401 Depth=1
	s_or_b64 exec, exec, s[38:39]
	v_add_co_u32_e32 v42, vcc, v42, v22
	v_addc_co_u32_e32 v43, vcc, 0, v43, vcc
	v_cmp_ge_u64_e32 vcc, v[42:43], v[56:57]
	s_or_b64 s[28:29], vcc, s[28:29]
	s_andn2_b64 exec, exec, s[28:29]
	s_cbranch_execz .LBB6_566
.LBB6_401:                              ; =>This Loop Header: Depth=1
                                        ;     Child Loop BB6_410 Depth 2
                                        ;     Child Loop BB6_434 Depth 2
	;; [unrolled: 1-line block ×10, first 2 shown]
	v_sub_co_u32_e32 v10, vcc, v56, v42
	v_subb_co_u32_e32 v11, vcc, v57, v43, vcc
	v_cmp_lt_u64_e32 vcc, v[22:23], v[10:11]
	v_cndmask_b32_e64 v45, v11, 0, vcc
	v_cndmask_b32_e32 v44, v10, v22, vcc
	v_add_u32_e32 v1, 15, v44
	v_cmp_eq_u64_e32 vcc, 0, v[44:45]
	v_and_b32_e32 v1, 0x3ffffff0, v1
	s_or_b64 s[36:37], s[6:7], vcc
	v_max_i32_e32 v50, s58, v1
	s_xor_b64 s[20:21], s[36:37], -1
	v_mov_b32_e32 v12, 0
	s_and_saveexec_b64 s[38:39], s[20:21]
	s_cbranch_execz .LBB6_519
; %bb.402:                              ;   in Loop: Header=BB6_401 Depth=1
	s_and_saveexec_b64 s[20:21], s[4:5]
	s_cbranch_execz .LBB6_404
; %bb.403:                              ;   in Loop: Header=BB6_401 Depth=1
	s_trap 2
	ds_read_b64 v[10:11], v0
	v_accvgpr_read_b32 v4, a26
	v_accvgpr_read_b32 v5, a27
	v_mov_b32_e32 v24, v25
	ds_write_b64 v0, v[24:25]
	s_waitcnt lgkmcnt(0)
	v_add_co_u32_e32 v1, vcc, v10, v4
	v_addc_co_u32_e32 v12, vcc, v11, v5, vcc
	v_lshlrev_b64 v[10:11], 1, v[42:43]
	v_add_co_u32_e32 v10, vcc, v1, v10
	v_addc_co_u32_e32 v11, vcc, v12, v11, vcc
	ds_write_b64 v0, v[10:11]
.LBB6_404:                              ;   in Loop: Header=BB6_401 Depth=1
	s_or_b64 exec, exec, s[20:21]
	v_and_b32_e32 v1, 8, v2
	v_cmp_ne_u32_e32 vcc, 0, v1
	s_mov_b64 s[40:41], -1
	s_and_saveexec_b64 s[20:21], vcc
	s_cbranch_execz .LBB6_416
; %bb.405:                              ;   in Loop: Header=BB6_401 Depth=1
	v_add_co_u32_e32 v12, vcc, 8, v34
	v_addc_co_u32_e32 v13, vcc, 0, v35, vcc
	v_add_co_u32_e32 v10, vcc, 1, v8
	v_addc_co_u32_e32 v11, vcc, 0, v9, vcc
	v_cmp_lt_u64_e32 vcc, v[12:13], v[10:11]
	v_mov_b32_e32 v1, 1
	s_and_saveexec_b64 s[40:41], vcc
	s_cbranch_execz .LBB6_415
; %bb.406:                              ;   in Loop: Header=BB6_401 Depth=1
	s_mov_b64 s[42:43], 0
	v_mov_b32_e32 v1, 0
                                        ; implicit-def: $sgpr44_sgpr45
	s_branch .LBB6_410
.LBB6_407:                              ;   in Loop: Header=BB6_410 Depth=2
	s_or_b64 exec, exec, s[52:53]
	v_mov_b32_e32 v12, 0
	s_orn2_b64 s[50:51], s[50:51], exec
.LBB6_408:                              ;   in Loop: Header=BB6_410 Depth=2
	s_or_b64 exec, exec, s[48:49]
	s_andn2_b64 vcc, s[44:45], exec
	s_and_b64 s[44:45], s[50:51], exec
	s_or_b64 s[44:45], vcc, s[44:45]
	v_mov_b32_e32 v1, v12
.LBB6_409:                              ;   in Loop: Header=BB6_410 Depth=2
	s_or_b64 exec, exec, s[46:47]
	s_waitcnt vmcnt(0) lgkmcnt(0)
	v_add_co_u32_e32 v12, vcc, 8, v34
	v_addc_co_u32_e32 v13, vcc, 0, v35, vcc
	v_cmp_ge_u64_e32 vcc, v[12:13], v[10:11]
	s_xor_b64 s[46:47], s[44:45], -1
	s_or_b64 vcc, s[46:47], vcc
	s_and_b64 vcc, exec, vcc
	s_or_b64 s[42:43], vcc, s[42:43]
	s_andn2_b64 exec, exec, s[42:43]
	s_cbranch_execz .LBB6_414
.LBB6_410:                              ;   Parent Loop BB6_401 Depth=1
                                        ; =>  This Inner Loop Header: Depth=2
	s_sleep 1
	flat_load_dwordx2 v[34:35], v[28:29] glc
	v_and_b32_e32 v12, 64, v2
	v_cmp_eq_u32_e32 vcc, 0, v12
	s_andn2_b64 s[44:45], s[44:45], exec
	s_and_saveexec_b64 s[46:47], vcc
	s_cbranch_execz .LBB6_409
; %bb.411:                              ;   in Loop: Header=BB6_410 Depth=2
	v_add_u32_e32 v12, 1, v1
	v_cmp_lt_i32_e32 vcc, s59, v1
	s_mov_b64 s[50:51], -1
	s_and_saveexec_b64 s[48:49], vcc
	s_cbranch_execz .LBB6_408
; %bb.412:                              ;   in Loop: Header=BB6_410 Depth=2
	s_trap 2
	ds_read_b64 v[12:13], v0
	s_waitcnt vmcnt(0) lgkmcnt(0)
	flat_load_dword v1, v[12:13] glc
	s_waitcnt vmcnt(0) lgkmcnt(0)
	buffer_invl2
	buffer_wbinvl1_vol
	v_cmp_ne_u32_e32 vcc, 0, v1
	s_and_saveexec_b64 s[52:53], vcc
	s_cbranch_execz .LBB6_407
; %bb.413:                              ;   in Loop: Header=BB6_410 Depth=2
	v_or_b32_e32 v2, 64, v2
	s_xor_b64 s[50:51], exec, -1
	ds_write_b32 v0, v1
	s_trap 2
	s_branch .LBB6_407
.LBB6_414:                              ;   in Loop: Header=BB6_401 Depth=1
	s_or_b64 exec, exec, s[42:43]
	v_and_b32_e32 v1, 8, v2
.LBB6_415:                              ;   in Loop: Header=BB6_401 Depth=1
	s_or_b64 exec, exec, s[40:41]
	v_cmp_eq_u32_e32 vcc, 0, v1
	s_orn2_b64 s[40:41], vcc, exec
	;;#ASMSTART
	s_wakeup
	;;#ASMEND
.LBB6_416:                              ;   in Loop: Header=BB6_401 Depth=1
	s_or_b64 exec, exec, s[20:21]
	s_xor_b64 s[20:21], s[40:41], -1
	v_min_u32_e32 v50, v50, v44
	s_and_saveexec_b64 s[40:41], s[20:21]
	s_cbranch_execz .LBB6_426
; %bb.417:                              ;   in Loop: Header=BB6_401 Depth=1
	v_and_b32_e32 v1, 0x100, v2
	v_cmp_ne_u32_e32 vcc, 0, v1
	v_and_b32_e32 v1, 7, v8
	s_mov_b64 s[20:21], -1
                                        ; implicit-def: $vgpr10_vgpr11
	s_and_saveexec_b64 s[42:43], vcc
	s_cbranch_execz .LBB6_421
; %bb.418:                              ;   in Loop: Header=BB6_401 Depth=1
	v_mad_u64_u32 v[12:13], s[20:21], v1, 24, v[6:7]
	flat_load_dword v10, v[12:13]
	v_lshlrev_b32_e32 v24, 1, v50
	flat_store_dwordx2 v[12:13], v[24:25] offset:8
	s_waitcnt vmcnt(0) lgkmcnt(0)
	v_cmp_ne_u32_e32 vcc, 1, v10
	v_cmp_eq_u32_e64 s[20:21], 1, v10
                                        ; implicit-def: $vgpr10_vgpr11
	s_and_saveexec_b64 s[44:45], s[20:21]
	s_cbranch_execz .LBB6_420
; %bb.419:                              ;   in Loop: Header=BB6_401 Depth=1
	flat_load_dword v10, v[12:13] offset:4 glc
	s_waitcnt vmcnt(0) lgkmcnt(0)
	v_ashrrev_i32_e32 v11, 31, v10
	v_lshrrev_b64 v[10:11], 1, v[10:11]
.LBB6_420:                              ;   in Loop: Header=BB6_401 Depth=1
	s_or_b64 exec, exec, s[44:45]
	s_orn2_b64 s[20:21], vcc, exec
.LBB6_421:                              ;   in Loop: Header=BB6_401 Depth=1
	s_or_b64 exec, exec, s[42:43]
	s_and_saveexec_b64 vcc, s[20:21]
; %bb.422:                              ;   in Loop: Header=BB6_401 Depth=1
	v_mad_i64_i32 v[10:11], s[20:21], v1, v46, 0
; %bb.423:                              ;   in Loop: Header=BB6_401 Depth=1
	s_or_b64 exec, exec, vcc
	v_lshlrev_b64 v[10:11], 1, v[10:11]
	v_add_co_u32_e32 v10, vcc, v58, v10
	v_addc_co_u32_e32 v11, vcc, v59, v11, vcc
	v_and_b32_e32 v1, 0x2000, v2
	v_cmp_ne_u32_e32 vcc, 0, v1
	ds_write_b64 v0, v[10:11] offset:784
	s_and_saveexec_b64 s[20:21], vcc
	s_cbranch_execz .LBB6_425
; %bb.424:                              ;   in Loop: Header=BB6_401 Depth=1
	ds_read_b64 v[10:11], v0 offset:584
	s_waitcnt lgkmcnt(0)
	v_add_co_u32_e32 v10, vcc, 1, v10
	v_addc_co_u32_e32 v11, vcc, 0, v11, vcc
	ds_write_b64 v0, v[10:11] offset:584
.LBB6_425:                              ;   in Loop: Header=BB6_401 Depth=1
	s_or_b64 exec, exec, s[20:21]
	v_add_co_u32_e32 v8, vcc, 1, v8
	v_addc_co_u32_e32 v9, vcc, 0, v9, vcc
.LBB6_426:                              ;   in Loop: Header=BB6_401 Depth=1
	s_or_b64 exec, exec, s[40:41]
	s_and_saveexec_b64 s[20:21], s[10:11]
	s_cbranch_execz .LBB6_445
; %bb.427:                              ;   in Loop: Header=BB6_401 Depth=1
	s_and_saveexec_b64 vcc, s[30:31]
	s_xor_b64 s[40:41], exec, vcc
	s_cbranch_execz .LBB6_442
; %bb.428:                              ;   in Loop: Header=BB6_401 Depth=1
	s_and_saveexec_b64 s[42:43], s[12:13]
	s_cbranch_execz .LBB6_441
; %bb.429:                              ;   in Loop: Header=BB6_401 Depth=1
	s_mov_b64 s[46:47], exec
	v_mbcnt_lo_u32_b32 v1, s46, 0
	v_mbcnt_hi_u32_b32 v1, s47, v1
	v_cmp_eq_u32_e32 vcc, 0, v1
	s_waitcnt vmcnt(0) lgkmcnt(0)
	buffer_wbinvl1_vol
	s_and_saveexec_b64 s[44:45], vcc
	s_cbranch_execz .LBB6_431
; %bb.430:                              ;   in Loop: Header=BB6_401 Depth=1
	s_bcnt1_i32_b64 vcc_lo, s[46:47]
	v_mov_b32_e32 v24, vcc_lo
	ds_add_u64 v0, v[24:25]
	s_trap 2
.LBB6_431:                              ;   in Loop: Header=BB6_401 Depth=1
	s_or_b64 exec, exec, s[44:45]
	s_trap 2
	ds_read_b64 v[10:11], v0
	v_add_co_u32_e32 v36, vcc, v36, v52
	v_addc_co_u32_e32 v37, vcc, 0, v37, vcc
	s_waitcnt lgkmcnt(0)
	v_cmp_lt_u64_e32 vcc, v[10:11], v[36:37]
	s_and_saveexec_b64 s[44:45], vcc
	s_cbranch_execz .LBB6_440
; %bb.432:                              ;   in Loop: Header=BB6_401 Depth=1
	s_mov_b32 s56, 0
	s_mov_b64 s[46:47], 0
                                        ; implicit-def: $sgpr48_sgpr49
                                        ; implicit-def: $sgpr50_sgpr51
	s_branch .LBB6_434
.LBB6_433:                              ;   in Loop: Header=BB6_434 Depth=2
	s_or_b64 exec, exec, s[54:55]
	s_and_b64 vcc, exec, vcc
	s_or_b64 s[46:47], vcc, s[46:47]
	s_andn2_b64 vcc, s[48:49], exec
	s_and_b64 s[48:49], s[50:51], exec
	s_or_b64 s[48:49], vcc, s[48:49]
	s_andn2_b64 exec, exec, s[46:47]
	s_cbranch_execz .LBB6_438
.LBB6_434:                              ;   Parent Loop BB6_401 Depth=1
                                        ; =>  This Inner Loop Header: Depth=2
	s_add_i32 s56, s56, 1
	s_cmpk_lg_i32 s56, 0x2710
	s_cselect_b64 s[52:53], -1, 0
	s_and_b64 vcc, exec, s[52:53]
                                        ; implicit-def: $sgpr54_sgpr55
	s_cbranch_vccnz .LBB6_436
; %bb.435:                              ;   in Loop: Header=BB6_434 Depth=2
	s_trap 2
	ds_read_b64 v[10:11], v0
	s_andn2_b64 s[52:53], s[52:53], exec
	s_mov_b32 s56, 0
	s_mov_b64 s[54:55], -1
	s_waitcnt lgkmcnt(0)
	flat_load_dword v1, v[10:11] glc
	s_waitcnt vmcnt(0) lgkmcnt(0)
	buffer_invl2
	buffer_wbinvl1_vol
	v_cmp_eq_u32_e32 vcc, 0, v1
	s_and_b64 vcc, vcc, exec
	s_or_b64 s[52:53], s[52:53], vcc
.LBB6_436:                              ;   in Loop: Header=BB6_434 Depth=2
	s_andn2_b64 s[50:51], s[50:51], exec
	s_and_b64 s[54:55], s[54:55], exec
	s_mov_b64 vcc, -1
	s_or_b64 s[50:51], s[50:51], s[54:55]
	s_and_saveexec_b64 s[54:55], s[52:53]
	s_cbranch_execz .LBB6_433
; %bb.437:                              ;   in Loop: Header=BB6_434 Depth=2
	s_sleep 1
	s_trap 2
	ds_read_b64 v[10:11], v0
	s_andn2_b64 s[50:51], s[50:51], exec
	s_waitcnt lgkmcnt(0)
	v_cmp_ge_u64_e32 vcc, v[10:11], v[36:37]
	s_orn2_b64 vcc, vcc, exec
	s_branch .LBB6_433
.LBB6_438:                              ;   in Loop: Header=BB6_401 Depth=1
	s_or_b64 exec, exec, s[46:47]
	s_and_saveexec_b64 vcc, s[48:49]
	s_xor_b64 vcc, exec, vcc
	s_cbranch_execz .LBB6_440
; %bb.439:                              ;   in Loop: Header=BB6_401 Depth=1
	ds_write_b32 v0, v40
	s_trap 2
.LBB6_440:                              ;   in Loop: Header=BB6_401 Depth=1
	s_or_b64 exec, exec, s[44:45]
	;;#ASMSTART
	s_wakeup
	;;#ASMEND
.LBB6_441:                              ;   in Loop: Header=BB6_401 Depth=1
	s_or_b64 exec, exec, s[42:43]
.LBB6_442:                              ;   in Loop: Header=BB6_401 Depth=1
	s_andn2_saveexec_b64 vcc, s[40:41]
	s_cbranch_execz .LBB6_444
; %bb.443:                              ;   in Loop: Header=BB6_401 Depth=1
	s_waitcnt vmcnt(0) lgkmcnt(0)
	buffer_wbinvl1_vol
	s_barrier
.LBB6_444:                              ;   in Loop: Header=BB6_401 Depth=1
	s_or_b64 exec, exec, vcc
.LBB6_445:                              ;   in Loop: Header=BB6_401 Depth=1
	s_or_b64 exec, exec, s[20:21]
	s_trap 2
	ds_read_b32 v10, v0
	v_and_b32_e32 v1, 0x4000, v2
	v_cmp_ne_u32_e32 vcc, 0, v1
	s_and_b64 vcc, s[34:35], vcc
	s_and_saveexec_b64 s[20:21], vcc
	s_cbranch_execz .LBB6_464
; %bb.446:                              ;   in Loop: Header=BB6_401 Depth=1
	s_and_saveexec_b64 vcc, s[30:31]
	s_xor_b64 s[40:41], exec, vcc
	s_cbranch_execz .LBB6_461
; %bb.447:                              ;   in Loop: Header=BB6_401 Depth=1
	s_and_saveexec_b64 s[42:43], s[12:13]
	s_cbranch_execz .LBB6_460
; %bb.448:                              ;   in Loop: Header=BB6_401 Depth=1
	s_mov_b64 s[46:47], exec
	v_mbcnt_lo_u32_b32 v1, s46, 0
	v_mbcnt_hi_u32_b32 v1, s47, v1
	v_cmp_eq_u32_e32 vcc, 0, v1
	s_waitcnt vmcnt(0) lgkmcnt(0)
	buffer_wbinvl1_vol
	s_and_saveexec_b64 s[44:45], vcc
	s_cbranch_execz .LBB6_450
; %bb.449:                              ;   in Loop: Header=BB6_401 Depth=1
	s_bcnt1_i32_b64 vcc_lo, s[46:47]
	v_mov_b32_e32 v24, vcc_lo
	ds_add_u64 v0, v[24:25]
	s_trap 2
.LBB6_450:                              ;   in Loop: Header=BB6_401 Depth=1
	s_or_b64 exec, exec, s[44:45]
	s_trap 2
	ds_read_b64 v[12:13], v0
	v_add_co_u32_e32 v36, vcc, v36, v52
	v_addc_co_u32_e32 v37, vcc, 0, v37, vcc
	s_waitcnt lgkmcnt(0)
	v_cmp_lt_u64_e32 vcc, v[12:13], v[36:37]
	s_and_saveexec_b64 s[44:45], vcc
	s_cbranch_execz .LBB6_459
; %bb.451:                              ;   in Loop: Header=BB6_401 Depth=1
	s_mov_b32 s56, 0
	s_mov_b64 s[46:47], 0
                                        ; implicit-def: $sgpr48_sgpr49
                                        ; implicit-def: $sgpr50_sgpr51
	s_branch .LBB6_453
.LBB6_452:                              ;   in Loop: Header=BB6_453 Depth=2
	s_or_b64 exec, exec, s[54:55]
	s_and_b64 vcc, exec, vcc
	s_or_b64 s[46:47], vcc, s[46:47]
	s_andn2_b64 vcc, s[48:49], exec
	s_and_b64 s[48:49], s[50:51], exec
	s_or_b64 s[48:49], vcc, s[48:49]
	s_andn2_b64 exec, exec, s[46:47]
	s_cbranch_execz .LBB6_457
.LBB6_453:                              ;   Parent Loop BB6_401 Depth=1
                                        ; =>  This Inner Loop Header: Depth=2
	s_add_i32 s56, s56, 1
	s_cmpk_lg_i32 s56, 0x2710
	s_cselect_b64 s[52:53], -1, 0
	s_and_b64 vcc, exec, s[52:53]
                                        ; implicit-def: $sgpr54_sgpr55
	s_cbranch_vccnz .LBB6_455
; %bb.454:                              ;   in Loop: Header=BB6_453 Depth=2
	s_trap 2
	ds_read_b64 v[12:13], v0
	s_andn2_b64 s[52:53], s[52:53], exec
	s_mov_b32 s56, 0
	s_mov_b64 s[54:55], -1
	s_waitcnt lgkmcnt(0)
	flat_load_dword v1, v[12:13] glc
	s_waitcnt vmcnt(0) lgkmcnt(0)
	buffer_invl2
	buffer_wbinvl1_vol
	v_cmp_eq_u32_e32 vcc, 0, v1
	s_and_b64 vcc, vcc, exec
	s_or_b64 s[52:53], s[52:53], vcc
.LBB6_455:                              ;   in Loop: Header=BB6_453 Depth=2
	s_andn2_b64 s[50:51], s[50:51], exec
	s_and_b64 s[54:55], s[54:55], exec
	s_mov_b64 vcc, -1
	s_or_b64 s[50:51], s[50:51], s[54:55]
	s_and_saveexec_b64 s[54:55], s[52:53]
	s_cbranch_execz .LBB6_452
; %bb.456:                              ;   in Loop: Header=BB6_453 Depth=2
	s_sleep 1
	s_trap 2
	ds_read_b64 v[12:13], v0
	s_andn2_b64 s[50:51], s[50:51], exec
	s_waitcnt lgkmcnt(0)
	v_cmp_ge_u64_e32 vcc, v[12:13], v[36:37]
	s_orn2_b64 vcc, vcc, exec
	s_branch .LBB6_452
.LBB6_457:                              ;   in Loop: Header=BB6_401 Depth=1
	s_or_b64 exec, exec, s[46:47]
	s_and_saveexec_b64 vcc, s[48:49]
	s_xor_b64 vcc, exec, vcc
	s_cbranch_execz .LBB6_459
; %bb.458:                              ;   in Loop: Header=BB6_401 Depth=1
	ds_write_b32 v0, v40
	s_trap 2
.LBB6_459:                              ;   in Loop: Header=BB6_401 Depth=1
	s_or_b64 exec, exec, s[44:45]
	;;#ASMSTART
	s_wakeup
	;;#ASMEND
.LBB6_460:                              ;   in Loop: Header=BB6_401 Depth=1
	s_or_b64 exec, exec, s[42:43]
.LBB6_461:                              ;   in Loop: Header=BB6_401 Depth=1
	s_andn2_saveexec_b64 vcc, s[40:41]
	s_cbranch_execz .LBB6_463
; %bb.462:                              ;   in Loop: Header=BB6_401 Depth=1
	s_waitcnt vmcnt(0) lgkmcnt(0)
	buffer_wbinvl1_vol
	s_barrier
.LBB6_463:                              ;   in Loop: Header=BB6_401 Depth=1
	s_or_b64 exec, exec, vcc
.LBB6_464:                              ;   in Loop: Header=BB6_401 Depth=1
	s_or_b64 exec, exec, s[20:21]
	s_trap 2
	ds_read_b64 v[12:13], v0
	s_waitcnt lgkmcnt(0)
	v_readfirstlane_b32 s20, v12
	v_readfirstlane_b32 s21, v13
	s_cmp_eq_u64 s[20:21], 0
	s_cselect_b64 s[20:21], -1, 0
	s_or_b64 vcc, s[20:21], s[20:21]
	s_mov_b64 s[20:21], 0
	s_and_b64 vcc, exec, vcc
	s_cbranch_vccnz .LBB6_493
; %bb.465:                              ;   in Loop: Header=BB6_401 Depth=1
	s_mov_b64 s[20:21], -1
	s_and_saveexec_b64 s[40:41], s[14:15]
	s_cbranch_execz .LBB6_467
; %bb.466:                              ;   in Loop: Header=BB6_401 Depth=1
	ds_read_b32 v1, v0 offset:720
	s_waitcnt lgkmcnt(0)
	v_and_b32_e32 v1, 15, v1
	v_cmp_eq_u32_e32 vcc, 0, v1
	s_orn2_b64 s[20:21], vcc, exec
.LBB6_467:                              ;   in Loop: Header=BB6_401 Depth=1
	s_or_b64 exec, exec, s[40:41]
	s_and_saveexec_b64 s[40:41], s[16:17]
	s_cbranch_execz .LBB6_469
; %bb.468:                              ;   in Loop: Header=BB6_401 Depth=1
	ds_read_b32 v1, v0 offset:784
	s_waitcnt lgkmcnt(0)
	v_and_b32_e32 v1, 15, v1
	v_cmp_eq_u32_e32 vcc, 0, v1
	s_and_b64 vcc, s[20:21], vcc
	s_andn2_b64 s[20:21], s[20:21], exec
	s_and_b64 vcc, vcc, exec
	s_or_b64 s[20:21], s[20:21], vcc
.LBB6_469:                              ;   in Loop: Header=BB6_401 Depth=1
	s_or_b64 exec, exec, s[40:41]
	v_cmp_eq_u32_e32 vcc, 0, v10
	s_xor_b64 s[20:21], s[20:21], -1
	v_cndmask_b32_e32 v45, 0, v50, vcc
	v_cndmask_b32_e64 v1, 0, 1, s[20:21]
	v_mov_b32_e32 v18, 0
	v_lshlrev_b32_e32 v54, 1, v45
	s_mov_b64 s[42:43], -1
	;;#ASMSTART
	;;#ASMEND
	v_cmp_ne_u32_e32 vcc, 0, v1
	s_cbranch_vccz .LBB6_471
; %bb.470:                              ;   in Loop: Header=BB6_401 Depth=1
	v_mov_b32_e32 v19, v60
	v_mov_b32_e32 v12, v47
	s_and_saveexec_b64 s[20:21], s[42:43]
	s_cbranch_execnz .LBB6_484
	s_branch .LBB6_492
.LBB6_471:                              ;   in Loop: Header=BB6_401 Depth=1
	v_lshrrev_b32_e32 v0, 11, v45
	v_accvgpr_write_b32 a28, v45
	v_sub_u32_e32 v45, v0, v47
	v_cmp_lt_i32_e32 vcc, 0, v45
	s_and_saveexec_b64 s[20:21], vcc
	s_cbranch_execz .LBB6_475
; %bb.472:                              ;   in Loop: Header=BB6_401 Depth=1
	v_accvgpr_write_b32 a17, v47
	v_accvgpr_write_b32 a10, v46
	s_trap 2
	ds_read_b64 v[46:47], v0
	v_accvgpr_write_b32 a12, v58
	v_accvgpr_write_b32 a4, v56
	v_accvgpr_write_b32 a29, v0
	v_accvgpr_write_b32 a21, v62
	v_accvgpr_write_b32 a20, v61
	v_accvgpr_write_b32 a11, v25
	v_accvgpr_write_b32 a13, v59
	v_accvgpr_write_b32 a5, v57
	v_accvgpr_write_b32 a3, v60
	s_mov_b64 s[40:41], 0
	s_waitcnt lgkmcnt(0)
	v_pk_mov_b32 v[56:57], v[46:47], v[46:47] op_sel:[0,1]
	v_pk_mov_b32 v[58:59], v[46:47], v[46:47] op_sel:[0,1]
.LBB6_473:                              ;   Parent Loop BB6_401 Depth=1
                                        ; =>  This Inner Loop Header: Depth=2
	v_add_co_u32_e32 v22, vcc, v16, v58
	v_addc_co_u32_e32 v23, vcc, v39, v59, vcc
	global_load_dwordx4 v[10:13], v[22:23], off glc slc
	global_load_dwordx4 v[14:17], v[22:23], off offset:1024 glc slc
	global_load_dwordx4 v[18:21], v[22:23], off offset:2048 glc slc
	s_nop 0
	global_load_dwordx4 v[22:25], v[22:23], off offset:3072 glc slc
	v_add_co_u32_e32 v60, vcc, v38, v56
	v_addc_co_u32_e32 v61, vcc, v39, v57, vcc
	v_add_co_u32_e32 v58, vcc, v58, v31
	v_addc_co_u32_e32 v59, vcc, v59, v41, vcc
	v_add_co_u32_e32 v56, vcc, v56, v31
	v_sub_u32_e32 v45, v45, v52
	v_addc_co_u32_e32 v57, vcc, v57, v41, vcc
	v_cmp_gt_i32_e32 vcc, 1, v45
	s_or_b64 s[40:41], vcc, s[40:41]
	s_waitcnt vmcnt(0)
	v_mul_f16_e32 v47, v46, v10
	v_mul_f16_sdwa v10, v46, v10 dst_sel:WORD_1 dst_unused:UNUSED_PAD src0_sel:DWORD src1_sel:WORD_1
	v_mul_f16_e32 v0, v46, v11
	v_mul_f16_sdwa v11, v46, v11 dst_sel:WORD_1 dst_unused:UNUSED_PAD src0_sel:DWORD src1_sel:WORD_1
	v_mul_f16_e32 v26, v46, v12
	v_mul_f16_sdwa v12, v46, v12 dst_sel:WORD_1 dst_unused:UNUSED_PAD src0_sel:DWORD src1_sel:WORD_1
	v_mul_f16_e32 v32, v46, v13
	v_mul_f16_sdwa v13, v46, v13 dst_sel:WORD_1 dst_unused:UNUSED_PAD src0_sel:DWORD src1_sel:WORD_1
	s_waitcnt vmcnt(2)
	v_mul_f16_e32 v30, v46, v16
	v_mul_f16_sdwa v16, v46, v16 dst_sel:WORD_1 dst_unused:UNUSED_PAD src0_sel:DWORD src1_sel:WORD_1
	v_mul_f16_e32 v33, v46, v14
	v_mul_f16_sdwa v14, v46, v14 dst_sel:WORD_1 dst_unused:UNUSED_PAD src0_sel:DWORD src1_sel:WORD_1
	v_mul_f16_e32 v3, v46, v15
	v_mul_f16_sdwa v15, v46, v15 dst_sel:WORD_1 dst_unused:UNUSED_PAD src0_sel:DWORD src1_sel:WORD_1
	v_mul_f16_e32 v27, v46, v17
	v_mul_f16_sdwa v17, v46, v17 dst_sel:WORD_1 dst_unused:UNUSED_PAD src0_sel:DWORD src1_sel:WORD_1
	;; [unrolled: 9-line block ×3, first 2 shown]
	v_or_b32_e32 v11, v11, v0
	v_or_b32_e32 v10, v10, v47
	;; [unrolled: 1-line block ×5, first 2 shown]
	s_waitcnt vmcnt(0)
	v_mul_f16_e32 v55, v46, v22
	v_mul_f16_sdwa v22, v46, v22 dst_sel:WORD_1 dst_unused:UNUSED_PAD src0_sel:DWORD src1_sel:WORD_1
	v_mul_f16_e32 v40, v46, v23
	v_mul_f16_sdwa v23, v46, v23 dst_sel:WORD_1 dst_unused:UNUSED_PAD src0_sel:DWORD src1_sel:WORD_1
	;; [unrolled: 2-line block ×4, first 2 shown]
	v_or_b32_e32 v15, v15, v3
	v_or_b32_e32 v14, v14, v33
	;; [unrolled: 1-line block ×7, first 2 shown]
	global_store_dwordx4 v[60:61], v[10:13], off glc slc
	global_store_dwordx4 v[60:61], v[14:17], off offset:1024 glc slc
	v_or_b32_e32 v23, v23, v40
	v_mov_b32_e32 v16, v38
	v_or_b32_e32 v22, v22, v55
	v_or_b32_e32 v25, v25, v24
	;; [unrolled: 1-line block ×3, first 2 shown]
	global_store_dwordx4 v[60:61], v[18:21], off offset:2048 glc slc
	global_store_dwordx4 v[60:61], v[22:25], off offset:3072 glc slc
	s_andn2_b64 exec, exec, s[40:41]
	s_cbranch_execnz .LBB6_473
; %bb.474:                              ;   in Loop: Header=BB6_401 Depth=1
	s_or_b64 exec, exec, s[40:41]
	v_accvgpr_read_b32 v57, a5
	v_accvgpr_read_b32 v59, a13
	;; [unrolled: 1-line block ×18, first 2 shown]
	v_mov_b32_e32 v40, 1
	v_accvgpr_read_b32 v0, a29
.LBB6_475:                              ;   in Loop: Header=BB6_401 Depth=1
	s_or_b64 exec, exec, s[20:21]
	v_lshlrev_b32_e32 v1, 12, v0
	v_cmp_ne_u32_e32 vcc, v54, v1
	s_mov_b64 s[42:43], 0
	v_mov_b32_e32 v18, 0
                                        ; implicit-def: $vgpr19
                                        ; implicit-def: $vgpr12
	s_and_saveexec_b64 s[40:41], vcc
	s_cbranch_execz .LBB6_483
; %bb.476:                              ;   in Loop: Header=BB6_401 Depth=1
	v_lshlrev_b32_e32 v3, 6, v45
	v_accvgpr_read_b32 v4, a16
	v_sub_u32_e32 v3, v4, v3
	v_ashrrev_i32_e32 v4, 31, v3
	v_lshrrev_b32_e32 v4, 26, v4
	v_add_u32_e32 v4, v3, v4
	v_ashrrev_i32_e32 v5, 6, v4
	v_and_b32_e32 v4, 0xffffffc0, v4
	v_sub_u32_e32 v14, v3, v4
	v_sub_u32_e32 v0, v54, v1
	v_lshlrev_b32_e32 v3, 4, v14
	v_lshl_add_u32 v12, v5, 10, v3
	v_ashrrev_i32_e32 v3, 31, v0
	v_lshrrev_b32_e32 v3, 22, v3
	v_add_u32_e32 v3, v0, v3
	v_and_b32_e32 v15, 0xfffffc00, v3
	v_sub_u32_e32 v17, v0, v15
	v_ashrrev_i32_e32 v4, 10, v3
	v_cmp_lt_i32_e32 vcc, 15, v17
	v_sub_u32_e32 v18, v0, v12
	v_addc_co_u32_e64 v0, s[20:21], 0, v4, vcc
	v_sub_u32_e32 v16, v0, v5
	v_cmp_lt_i32_e64 s[20:21], 15, v18
	s_and_saveexec_b64 s[42:43], s[20:21]
	s_cbranch_execz .LBB6_480
; %bb.477:                              ;   in Loop: Header=BB6_401 Depth=1
	s_trap 2
	ds_read_b64 v[10:11], v0
	v_add_u32_e32 v12, v12, v1
	v_mov_b32_e32 v27, v25
	v_ashrrev_i32_e32 v13, 31, v12
	s_mov_b64 s[44:45], 0
.LBB6_478:                              ;   Parent Loop BB6_401 Depth=1
                                        ; =>  This Inner Loop Header: Depth=2
	s_waitcnt lgkmcnt(0)
	v_add_co_u32_e64 v24, s[20:21], v10, v12
	v_addc_co_u32_e64 v25, s[20:21], v11, v13, s[20:21]
	global_load_dwordx4 v[20:23], v[24:25], off glc slc
	v_add_co_u32_e64 v12, s[20:21], v12, v62
	v_sub_u32_e32 v18, v18, v61
	v_addc_co_u32_e64 v13, s[20:21], v13, v30, s[20:21]
	v_cmp_gt_i32_e64 s[20:21], 16, v18
	v_sub_u32_e32 v16, v16, v52
	s_or_b64 s[44:45], s[20:21], s[44:45]
	s_waitcnt vmcnt(0)
	v_mul_f16_e32 v0, v10, v20
	v_mul_f16_sdwa v3, v10, v20 dst_sel:WORD_1 dst_unused:UNUSED_PAD src0_sel:DWORD src1_sel:WORD_1
	v_mul_f16_e32 v4, v10, v21
	v_mul_f16_sdwa v5, v10, v21 dst_sel:WORD_1 dst_unused:UNUSED_PAD src0_sel:DWORD src1_sel:WORD_1
	;; [unrolled: 2-line block ×4, first 2 shown]
	v_or_b32_e32 v21, v5, v4
	v_or_b32_e32 v20, v3, v0
	;; [unrolled: 1-line block ×4, first 2 shown]
	global_store_dwordx4 v[24:25], v[20:23], off glc slc
	s_andn2_b64 exec, exec, s[44:45]
	s_cbranch_execnz .LBB6_478
; %bb.479:                              ;   in Loop: Header=BB6_401 Depth=1
	s_or_b64 exec, exec, s[44:45]
	v_accvgpr_read_b32 v23, a19
	v_accvgpr_read_b32 v22, a18
	v_mov_b32_e32 v25, v27
.LBB6_480:                              ;   in Loop: Header=BB6_401 Depth=1
	s_or_b64 exec, exec, s[42:43]
	v_and_b32_e32 v10, 14, v54
	v_cndmask_b32_e32 v54, v17, v10, vcc
	v_cmp_ne_u32_e64 s[20:21], 0, v54
	s_mov_b64 s[42:43], 0
	v_mov_b32_e32 v18, 0
                                        ; implicit-def: $vgpr19
                                        ; implicit-def: $vgpr12
	s_and_saveexec_b64 s[44:45], s[20:21]
	s_cbranch_execz .LBB6_482
; %bb.481:                              ;   in Loop: Header=BB6_401 Depth=1
	v_sub_u32_e32 v0, v17, v10
	v_cndmask_b32_e32 v0, 0, v0, vcc
	v_cmp_lt_i32_e32 vcc, 0, v16
	v_add3_u32 v18, v15, v1, v0
	v_cndmask_b32_e32 v0, 0, v52, vcc
	v_sub_u32_e32 v0, v0, v16
	v_lshl_add_u32 v19, v0, 6, v14
	v_ashrrev_i32_e32 v0, 31, v19
	v_lshrrev_b32_e32 v0, 26, v0
	v_add_u32_e32 v0, v19, v0
	s_mov_b64 s[42:43], exec
	v_ashrrev_i32_e32 v12, 6, v0
.LBB6_482:                              ;   in Loop: Header=BB6_401 Depth=1
	s_or_b64 exec, exec, s[44:45]
	s_and_b64 s[42:43], s[42:43], exec
	v_mov_b32_e32 v16, v38
.LBB6_483:                              ;   in Loop: Header=BB6_401 Depth=1
	s_or_b64 exec, exec, s[40:41]
	v_accvgpr_read_b32 v45, a28
	s_and_saveexec_b64 s[20:21], s[42:43]
	s_cbranch_execz .LBB6_492
.LBB6_484:                              ;   in Loop: Header=BB6_401 Depth=1
	v_ashrrev_i32_e32 v0, 31, v54
	v_lshrrev_b32_e32 v0, 21, v0
	v_add_u32_e32 v0, v54, v0
	v_ashrrev_i32_e32 v21, 11, v0
	v_sub_u32_e32 v1, v21, v12
	v_ashrrev_i32_e32 v0, 31, v19
	v_cmp_lt_i32_e32 vcc, 0, v1
	v_lshrrev_b32_e32 v20, 26, v0
	s_and_saveexec_b64 s[40:41], vcc
	s_cbranch_execz .LBB6_488
; %bb.485:                              ;   in Loop: Header=BB6_401 Depth=1
	v_add_u32_e32 v0, v19, v20
	v_and_b32_e32 v0, 0x7fffffc0, v0
	v_sub_u32_e32 v0, v19, v0
	v_lshlrev_b32_e32 v0, 1, v0
	s_trap 2
	ds_read_b64 v[10:11], v0
	v_lshlrev_b32_e32 v3, 11, v12
	v_add3_u32 v12, v0, v18, v3
	v_accvgpr_write_b32 a3, v25
	v_ashrrev_i32_e32 v13, 31, v12
	s_mov_b64 s[42:43], 0
	s_waitcnt lgkmcnt(0)
	v_pk_mov_b32 v[14:15], v[10:11], v[10:11] op_sel:[0,1]
	v_pk_mov_b32 v[16:17], v[10:11], v[10:11] op_sel:[0,1]
.LBB6_486:                              ;   Parent Loop BB6_401 Depth=1
                                        ; =>  This Inner Loop Header: Depth=2
	v_add_co_u32_e32 v22, vcc, v12, v16
	v_addc_co_u32_e32 v23, vcc, v13, v17, vcc
	flat_load_ushort v0, v[22:23] glc slc
	flat_load_ushort v3, v[22:23] offset:128 glc slc
	flat_load_ushort v4, v[22:23] offset:256 glc slc
	;; [unrolled: 1-line block ×15, first 2 shown]
	v_add_co_u32_e32 v22, vcc, v12, v14
	v_addc_co_u32_e32 v23, vcc, v13, v15, vcc
	v_add_co_u32_e32 v16, vcc, v16, v48
	v_addc_co_u32_e32 v17, vcc, v17, v49, vcc
	v_add_co_u32_e32 v14, vcc, v14, v48
	v_sub_u32_e32 v1, v1, v52
	v_addc_co_u32_e32 v15, vcc, v15, v49, vcc
	v_cmp_gt_i32_e32 vcc, 1, v1
	s_or_b64 s[42:43], vcc, s[42:43]
	s_waitcnt vmcnt(0) lgkmcnt(0)
	v_mul_f16_e32 v0, v0, v10
	v_mul_f16_e32 v3, v3, v10
	;; [unrolled: 1-line block ×16, first 2 shown]
	flat_store_short v[22:23], v0 glc slc
	flat_store_short v[22:23], v3 offset:128 glc slc
	flat_store_short v[22:23], v4 offset:256 glc slc
	;; [unrolled: 1-line block ×15, first 2 shown]
	s_andn2_b64 exec, exec, s[42:43]
	s_cbranch_execnz .LBB6_486
; %bb.487:                              ;   in Loop: Header=BB6_401 Depth=1
	s_or_b64 exec, exec, s[42:43]
	v_accvgpr_read_b32 v33, a15
	v_accvgpr_read_b32 v23, a19
	;; [unrolled: 1-line block ×5, first 2 shown]
	v_mov_b32_e32 v16, v38
	v_accvgpr_read_b32 v30, a22
	v_accvgpr_read_b32 v51, a23
	v_accvgpr_read_b32 v53, a24
	v_accvgpr_read_b32 v55, a25
	v_mov_b32_e32 v40, 1
.LBB6_488:                              ;   in Loop: Header=BB6_401 Depth=1
	s_or_b64 exec, exec, s[40:41]
	v_lshlrev_b32_e32 v10, 11, v21
	v_cmp_ne_u32_e32 vcc, v54, v10
	s_and_b64 exec, exec, vcc
	s_cbranch_execz .LBB6_492
; %bb.489:                              ;   in Loop: Header=BB6_401 Depth=1
	v_add_u32_e32 v0, v19, v20
	v_and_b32_e32 v0, 0xffffffc0, v0
	v_sub_u32_e32 v0, v19, v0
	v_lshlrev_b32_e32 v1, 6, v1
	v_sub_u32_e32 v0, v0, v1
	v_ashrrev_i32_e32 v1, 31, v0
	v_lshrrev_b32_e32 v1, 26, v1
	v_add_u32_e32 v1, v0, v1
	v_and_b32_e32 v3, 0x7fffffc0, v1
	v_sub_u32_e32 v0, v0, v3
	v_lshlrev_b32_e32 v1, 1, v1
	v_and_b32_e32 v1, 0xffffff80, v1
	v_lshlrev_b32_e32 v0, 1, v0
	v_add3_u32 v12, v1, v0, v10
	v_sub_u32_e32 v1, v54, v12
	v_cmp_lt_i32_e32 vcc, 1, v1
	s_and_b64 exec, exec, vcc
	s_cbranch_execz .LBB6_492
; %bb.490:                              ;   in Loop: Header=BB6_401 Depth=1
	s_trap 2
	ds_read_b64 v[10:11], v0
	v_add_u32_e32 v12, v12, v18
	v_ashrrev_i32_e32 v13, 31, v12
	s_mov_b64 s[40:41], 0
.LBB6_491:                              ;   Parent Loop BB6_401 Depth=1
                                        ; =>  This Inner Loop Header: Depth=2
	s_waitcnt lgkmcnt(0)
	v_add_co_u32_e32 v14, vcc, v10, v12
	v_addc_co_u32_e32 v15, vcc, v11, v13, vcc
	flat_load_ushort v0, v[14:15] glc slc
	v_add_co_u32_e32 v12, vcc, v12, v53
	v_sub_u32_e32 v1, v1, v51
	v_addc_co_u32_e32 v13, vcc, v13, v55, vcc
	v_cmp_gt_i32_e32 vcc, 2, v1
	s_or_b64 s[40:41], vcc, s[40:41]
	s_waitcnt vmcnt(0) lgkmcnt(0)
	v_mul_f16_e32 v0, v0, v10
	flat_store_short v[14:15], v0 glc slc
	s_andn2_b64 exec, exec, s[40:41]
	s_cbranch_execnz .LBB6_491
.LBB6_492:                              ;   in Loop: Header=BB6_401 Depth=1
	s_or_b64 exec, exec, s[20:21]
	v_cmp_ne_u32_e64 s[20:21], 0, v45
.LBB6_493:                              ;   in Loop: Header=BB6_401 Depth=1
	s_and_saveexec_b64 s[40:41], s[10:11]
	s_cbranch_execz .LBB6_512
; %bb.494:                              ;   in Loop: Header=BB6_401 Depth=1
	s_and_saveexec_b64 vcc, s[30:31]
	s_xor_b64 s[42:43], exec, vcc
	s_cbranch_execz .LBB6_509
; %bb.495:                              ;   in Loop: Header=BB6_401 Depth=1
	s_and_saveexec_b64 s[44:45], s[12:13]
	s_cbranch_execz .LBB6_508
; %bb.496:                              ;   in Loop: Header=BB6_401 Depth=1
	s_mov_b64 s[48:49], exec
	v_mbcnt_lo_u32_b32 v0, s48, 0
	v_mbcnt_hi_u32_b32 v0, s49, v0
	v_cmp_eq_u32_e32 vcc, 0, v0
	s_waitcnt vmcnt(0) lgkmcnt(0)
	buffer_wbinvl1_vol
	s_and_saveexec_b64 s[46:47], vcc
	s_cbranch_execz .LBB6_498
; %bb.497:                              ;   in Loop: Header=BB6_401 Depth=1
	s_bcnt1_i32_b64 vcc_lo, s[48:49]
	v_mov_b32_e32 v24, vcc_lo
	ds_add_u64 v0, v[24:25]
	s_trap 2
.LBB6_498:                              ;   in Loop: Header=BB6_401 Depth=1
	s_or_b64 exec, exec, s[46:47]
	s_trap 2
	ds_read_b64 v[10:11], v0
	v_add_co_u32_e32 v36, vcc, v36, v52
	v_addc_co_u32_e32 v37, vcc, 0, v37, vcc
	s_waitcnt lgkmcnt(0)
	v_cmp_lt_u64_e32 vcc, v[10:11], v[36:37]
	s_and_saveexec_b64 s[46:47], vcc
	s_cbranch_execz .LBB6_507
; %bb.499:                              ;   in Loop: Header=BB6_401 Depth=1
	s_mov_b32 s60, 0
	s_mov_b64 s[48:49], 0
                                        ; implicit-def: $sgpr50_sgpr51
                                        ; implicit-def: $sgpr52_sgpr53
	s_branch .LBB6_501
.LBB6_500:                              ;   in Loop: Header=BB6_501 Depth=2
	s_or_b64 exec, exec, s[56:57]
	s_and_b64 vcc, exec, vcc
	s_or_b64 s[48:49], vcc, s[48:49]
	s_andn2_b64 vcc, s[50:51], exec
	s_and_b64 s[50:51], s[52:53], exec
	s_or_b64 s[50:51], vcc, s[50:51]
	s_andn2_b64 exec, exec, s[48:49]
	s_cbranch_execz .LBB6_505
.LBB6_501:                              ;   Parent Loop BB6_401 Depth=1
                                        ; =>  This Inner Loop Header: Depth=2
	s_add_i32 s60, s60, 1
	s_cmpk_lg_i32 s60, 0x2710
	s_cselect_b64 s[54:55], -1, 0
	s_and_b64 vcc, exec, s[54:55]
                                        ; implicit-def: $sgpr56_sgpr57
	s_cbranch_vccnz .LBB6_503
; %bb.502:                              ;   in Loop: Header=BB6_501 Depth=2
	s_trap 2
	ds_read_b64 v[10:11], v0
	s_andn2_b64 s[54:55], s[54:55], exec
	s_mov_b32 s60, 0
	s_mov_b64 s[56:57], -1
	s_waitcnt lgkmcnt(0)
	flat_load_dword v0, v[10:11] glc
	s_waitcnt vmcnt(0) lgkmcnt(0)
	buffer_invl2
	buffer_wbinvl1_vol
	v_cmp_eq_u32_e32 vcc, 0, v0
	s_and_b64 vcc, vcc, exec
	s_or_b64 s[54:55], s[54:55], vcc
.LBB6_503:                              ;   in Loop: Header=BB6_501 Depth=2
	s_andn2_b64 s[52:53], s[52:53], exec
	s_and_b64 s[56:57], s[56:57], exec
	s_mov_b64 vcc, -1
	s_or_b64 s[52:53], s[52:53], s[56:57]
	s_and_saveexec_b64 s[56:57], s[54:55]
	s_cbranch_execz .LBB6_500
; %bb.504:                              ;   in Loop: Header=BB6_501 Depth=2
	s_sleep 1
	s_trap 2
	ds_read_b64 v[10:11], v0
	s_andn2_b64 s[52:53], s[52:53], exec
	s_waitcnt lgkmcnt(0)
	v_cmp_ge_u64_e32 vcc, v[10:11], v[36:37]
	s_orn2_b64 vcc, vcc, exec
	s_branch .LBB6_500
.LBB6_505:                              ;   in Loop: Header=BB6_401 Depth=1
	s_or_b64 exec, exec, s[48:49]
	s_and_saveexec_b64 vcc, s[50:51]
	s_xor_b64 vcc, exec, vcc
	s_cbranch_execz .LBB6_507
; %bb.506:                              ;   in Loop: Header=BB6_401 Depth=1
	ds_write_b32 v0, v40
	s_trap 2
.LBB6_507:                              ;   in Loop: Header=BB6_401 Depth=1
	s_or_b64 exec, exec, s[46:47]
	;;#ASMSTART
	s_wakeup
	;;#ASMEND
.LBB6_508:                              ;   in Loop: Header=BB6_401 Depth=1
	s_or_b64 exec, exec, s[44:45]
.LBB6_509:                              ;   in Loop: Header=BB6_401 Depth=1
	s_andn2_saveexec_b64 vcc, s[42:43]
	s_cbranch_execz .LBB6_511
; %bb.510:                              ;   in Loop: Header=BB6_401 Depth=1
	s_waitcnt vmcnt(0) lgkmcnt(0)
	buffer_wbinvl1_vol
	s_barrier
.LBB6_511:                              ;   in Loop: Header=BB6_401 Depth=1
	s_or_b64 exec, exec, vcc
.LBB6_512:                              ;   in Loop: Header=BB6_401 Depth=1
	s_or_b64 exec, exec, s[40:41]
	v_and_b32_e32 v1, 16, v2
	v_cmp_ne_u32_e32 vcc, 0, v1
	s_and_b64 vcc, vcc, s[20:21]
	s_and_saveexec_b64 s[20:21], vcc
	s_cbranch_execz .LBB6_514
; %bb.513:                              ;   in Loop: Header=BB6_401 Depth=1
	s_waitcnt vmcnt(0) lgkmcnt(0)
	buffer_wbinvl1_vol
.LBB6_514:                              ;   in Loop: Header=BB6_401 Depth=1
	s_or_b64 exec, exec, s[20:21]
	v_cmp_ne_u32_e32 vcc, 0, v1
	s_and_saveexec_b64 s[20:21], vcc
	s_cbranch_execz .LBB6_518
; %bb.515:                              ;   in Loop: Header=BB6_401 Depth=1
	s_and_saveexec_b64 vcc, s[18:19]
	s_cbranch_execz .LBB6_517
; %bb.516:                              ;   in Loop: Header=BB6_401 Depth=1
	flat_store_dword v[32:33], v40
.LBB6_517:                              ;   in Loop: Header=BB6_401 Depth=1
	s_or_b64 exec, exec, vcc
	v_add_co_u32_e32 v8, vcc, 1, v8
	v_addc_co_u32_e32 v9, vcc, 0, v9, vcc
	flat_store_dwordx2 v[28:29], v[8:9]
.LBB6_518:                              ;   in Loop: Header=BB6_401 Depth=1
	s_or_b64 exec, exec, s[20:21]
	v_mov_b32_e32 v12, v50
.LBB6_519:                              ;   in Loop: Header=BB6_401 Depth=1
	s_or_b64 exec, exec, s[38:39]
	s_and_saveexec_b64 s[38:39], s[36:37]
	s_cbranch_execz .LBB6_400
; %bb.520:                              ;   in Loop: Header=BB6_401 Depth=1
	v_and_b32_e32 v0, 8, v2
	v_cmp_ne_u32_e32 vcc, 0, v0
	s_mov_b64 s[36:37], -1
	s_and_saveexec_b64 s[20:21], vcc
	s_cbranch_execz .LBB6_532
; %bb.521:                              ;   in Loop: Header=BB6_401 Depth=1
	v_add_co_u32_e32 v14, vcc, 8, v34
	v_addc_co_u32_e32 v15, vcc, 0, v35, vcc
	v_add_co_u32_e32 v10, vcc, 1, v8
	v_addc_co_u32_e32 v11, vcc, 0, v9, vcc
	v_cmp_lt_u64_e32 vcc, v[14:15], v[10:11]
	v_mov_b32_e32 v1, 1
	s_and_saveexec_b64 s[36:37], vcc
	s_cbranch_execz .LBB6_531
; %bb.522:                              ;   in Loop: Header=BB6_401 Depth=1
	s_mov_b64 s[40:41], 0
	v_mov_b32_e32 v1, 0
                                        ; implicit-def: $sgpr42_sgpr43
	s_branch .LBB6_526
.LBB6_523:                              ;   in Loop: Header=BB6_526 Depth=2
	s_or_b64 exec, exec, s[50:51]
	v_mov_b32_e32 v13, 0
	s_orn2_b64 s[48:49], s[48:49], exec
.LBB6_524:                              ;   in Loop: Header=BB6_526 Depth=2
	s_or_b64 exec, exec, s[46:47]
	s_andn2_b64 vcc, s[42:43], exec
	s_and_b64 s[42:43], s[48:49], exec
	s_or_b64 s[42:43], vcc, s[42:43]
	v_mov_b32_e32 v1, v13
.LBB6_525:                              ;   in Loop: Header=BB6_526 Depth=2
	s_or_b64 exec, exec, s[44:45]
	s_waitcnt vmcnt(0) lgkmcnt(0)
	v_add_co_u32_e32 v14, vcc, 8, v34
	v_addc_co_u32_e32 v15, vcc, 0, v35, vcc
	v_cmp_ge_u64_e32 vcc, v[14:15], v[10:11]
	s_xor_b64 s[44:45], s[42:43], -1
	s_or_b64 vcc, s[44:45], vcc
	s_and_b64 vcc, exec, vcc
	s_or_b64 s[40:41], vcc, s[40:41]
	s_andn2_b64 exec, exec, s[40:41]
	s_cbranch_execz .LBB6_530
.LBB6_526:                              ;   Parent Loop BB6_401 Depth=1
                                        ; =>  This Inner Loop Header: Depth=2
	s_sleep 1
	flat_load_dwordx2 v[34:35], v[28:29] glc
	v_and_b32_e32 v0, 64, v2
	v_cmp_eq_u32_e32 vcc, 0, v0
	s_andn2_b64 s[42:43], s[42:43], exec
	s_and_saveexec_b64 s[44:45], vcc
	s_cbranch_execz .LBB6_525
; %bb.527:                              ;   in Loop: Header=BB6_526 Depth=2
	v_add_u32_e32 v13, 1, v1
	v_cmp_lt_i32_e32 vcc, s59, v1
	s_mov_b64 s[48:49], -1
	s_and_saveexec_b64 s[46:47], vcc
	s_cbranch_execz .LBB6_524
; %bb.528:                              ;   in Loop: Header=BB6_526 Depth=2
	s_trap 2
	ds_read_b64 v[14:15], v0
	s_waitcnt vmcnt(0) lgkmcnt(0)
	flat_load_dword v1, v[14:15] glc
	s_waitcnt vmcnt(0) lgkmcnt(0)
	buffer_invl2
	buffer_wbinvl1_vol
	v_cmp_ne_u32_e32 vcc, 0, v1
	s_and_saveexec_b64 s[50:51], vcc
	s_cbranch_execz .LBB6_523
; %bb.529:                              ;   in Loop: Header=BB6_526 Depth=2
	v_or_b32_e32 v2, 64, v2
	s_xor_b64 s[48:49], exec, -1
	ds_write_b32 v0, v1
	s_trap 2
	s_branch .LBB6_523
.LBB6_530:                              ;   in Loop: Header=BB6_401 Depth=1
	s_or_b64 exec, exec, s[40:41]
	v_and_b32_e32 v1, 8, v2
.LBB6_531:                              ;   in Loop: Header=BB6_401 Depth=1
	s_or_b64 exec, exec, s[36:37]
	v_cmp_eq_u32_e32 vcc, 0, v1
	s_orn2_b64 s[36:37], vcc, exec
	;;#ASMSTART
	s_wakeup
	;;#ASMEND
.LBB6_532:                              ;   in Loop: Header=BB6_401 Depth=1
	s_or_b64 exec, exec, s[20:21]
	v_sub_u32_e32 v0, v44, v12
	s_xor_b64 s[20:21], s[36:37], -1
	v_min_i32_e32 v10, v50, v0
	s_and_saveexec_b64 s[36:37], s[20:21]
	s_cbranch_execz .LBB6_542
; %bb.533:                              ;   in Loop: Header=BB6_401 Depth=1
	v_and_b32_e32 v0, 0x100, v2
	v_cmp_ne_u32_e32 vcc, 0, v0
	v_and_b32_e32 v1, 7, v8
	s_mov_b64 s[20:21], -1
                                        ; implicit-def: $vgpr12_vgpr13
	s_and_saveexec_b64 s[40:41], vcc
	s_cbranch_execz .LBB6_537
; %bb.534:                              ;   in Loop: Header=BB6_401 Depth=1
	v_mad_u64_u32 v[14:15], s[20:21], v1, 24, v[6:7]
	flat_load_dword v0, v[14:15]
	v_ashrrev_i32_e32 v11, 31, v10
	v_lshlrev_b64 v[12:13], 1, v[10:11]
	flat_store_dwordx2 v[14:15], v[12:13] offset:8
                                        ; implicit-def: $vgpr12_vgpr13
	s_waitcnt vmcnt(0) lgkmcnt(0)
	v_cmp_ne_u32_e32 vcc, 1, v0
	v_cmp_eq_u32_e64 s[20:21], 1, v0
	s_and_saveexec_b64 s[42:43], s[20:21]
	s_cbranch_execz .LBB6_536
; %bb.535:                              ;   in Loop: Header=BB6_401 Depth=1
	flat_load_dword v12, v[14:15] offset:4 glc
	s_waitcnt vmcnt(0) lgkmcnt(0)
	v_ashrrev_i32_e32 v13, 31, v12
	v_lshrrev_b64 v[12:13], 1, v[12:13]
.LBB6_536:                              ;   in Loop: Header=BB6_401 Depth=1
	s_or_b64 exec, exec, s[42:43]
	s_orn2_b64 s[20:21], vcc, exec
.LBB6_537:                              ;   in Loop: Header=BB6_401 Depth=1
	s_or_b64 exec, exec, s[40:41]
	s_and_saveexec_b64 vcc, s[20:21]
; %bb.538:                              ;   in Loop: Header=BB6_401 Depth=1
	v_mad_i64_i32 v[12:13], s[20:21], v1, v46, 0
; %bb.539:                              ;   in Loop: Header=BB6_401 Depth=1
	s_or_b64 exec, exec, vcc
	v_lshlrev_b64 v[12:13], 1, v[12:13]
	v_add_co_u32_e32 v12, vcc, v58, v12
	v_addc_co_u32_e32 v13, vcc, v59, v13, vcc
	ds_write_b64 v0, v[12:13] offset:784
	v_and_b32_e32 v0, 0x2000, v2
	v_cmp_ne_u32_e32 vcc, 0, v0
	s_and_saveexec_b64 s[20:21], vcc
	s_cbranch_execz .LBB6_541
; %bb.540:                              ;   in Loop: Header=BB6_401 Depth=1
	ds_read_b64 v[12:13], v0 offset:584
	s_waitcnt lgkmcnt(0)
	v_add_co_u32_e32 v12, vcc, 1, v12
	v_addc_co_u32_e32 v13, vcc, 0, v13, vcc
	ds_write_b64 v0, v[12:13] offset:584
.LBB6_541:                              ;   in Loop: Header=BB6_401 Depth=1
	s_or_b64 exec, exec, s[20:21]
	v_add_co_u32_e32 v8, vcc, 1, v8
	v_addc_co_u32_e32 v9, vcc, 0, v9, vcc
.LBB6_542:                              ;   in Loop: Header=BB6_401 Depth=1
	s_or_b64 exec, exec, s[36:37]
	s_and_saveexec_b64 s[20:21], s[10:11]
	s_cbranch_execz .LBB6_561
; %bb.543:                              ;   in Loop: Header=BB6_401 Depth=1
	s_and_saveexec_b64 vcc, s[30:31]
	s_xor_b64 s[36:37], exec, vcc
	s_cbranch_execz .LBB6_558
; %bb.544:                              ;   in Loop: Header=BB6_401 Depth=1
	s_and_saveexec_b64 s[40:41], s[12:13]
	s_cbranch_execz .LBB6_557
; %bb.545:                              ;   in Loop: Header=BB6_401 Depth=1
	s_mov_b64 s[44:45], exec
	v_mbcnt_lo_u32_b32 v0, s44, 0
	v_mbcnt_hi_u32_b32 v0, s45, v0
	v_cmp_eq_u32_e32 vcc, 0, v0
	s_waitcnt vmcnt(0) lgkmcnt(0)
	buffer_wbinvl1_vol
	s_and_saveexec_b64 s[42:43], vcc
	s_cbranch_execz .LBB6_547
; %bb.546:                              ;   in Loop: Header=BB6_401 Depth=1
	s_bcnt1_i32_b64 vcc_lo, s[44:45]
	v_mov_b32_e32 v24, vcc_lo
	ds_add_u64 v0, v[24:25]
	s_trap 2
.LBB6_547:                              ;   in Loop: Header=BB6_401 Depth=1
	s_or_b64 exec, exec, s[42:43]
	s_trap 2
	ds_read_b64 v[12:13], v0
	v_add_co_u32_e32 v36, vcc, v36, v52
	v_addc_co_u32_e32 v37, vcc, 0, v37, vcc
	s_waitcnt lgkmcnt(0)
	v_cmp_lt_u64_e32 vcc, v[12:13], v[36:37]
	s_and_saveexec_b64 s[42:43], vcc
	s_cbranch_execz .LBB6_556
; %bb.548:                              ;   in Loop: Header=BB6_401 Depth=1
	s_mov_b32 s54, 0
	s_mov_b64 s[44:45], 0
                                        ; implicit-def: $sgpr46_sgpr47
                                        ; implicit-def: $sgpr48_sgpr49
	s_branch .LBB6_550
.LBB6_549:                              ;   in Loop: Header=BB6_550 Depth=2
	s_or_b64 exec, exec, s[52:53]
	s_and_b64 vcc, exec, vcc
	s_or_b64 s[44:45], vcc, s[44:45]
	s_andn2_b64 vcc, s[46:47], exec
	s_and_b64 s[46:47], s[48:49], exec
	s_or_b64 s[46:47], vcc, s[46:47]
	s_andn2_b64 exec, exec, s[44:45]
	s_cbranch_execz .LBB6_554
.LBB6_550:                              ;   Parent Loop BB6_401 Depth=1
                                        ; =>  This Inner Loop Header: Depth=2
	s_add_i32 s54, s54, 1
	s_cmpk_lg_i32 s54, 0x2710
	s_cselect_b64 s[50:51], -1, 0
	s_and_b64 vcc, exec, s[50:51]
                                        ; implicit-def: $sgpr52_sgpr53
	s_cbranch_vccnz .LBB6_552
; %bb.551:                              ;   in Loop: Header=BB6_550 Depth=2
	s_trap 2
	ds_read_b64 v[12:13], v0
	s_andn2_b64 s[50:51], s[50:51], exec
	s_mov_b32 s54, 0
	s_mov_b64 s[52:53], -1
	s_waitcnt lgkmcnt(0)
	flat_load_dword v0, v[12:13] glc
	s_waitcnt vmcnt(0) lgkmcnt(0)
	buffer_invl2
	buffer_wbinvl1_vol
	v_cmp_eq_u32_e32 vcc, 0, v0
	s_and_b64 vcc, vcc, exec
	s_or_b64 s[50:51], s[50:51], vcc
.LBB6_552:                              ;   in Loop: Header=BB6_550 Depth=2
	s_andn2_b64 s[48:49], s[48:49], exec
	s_and_b64 s[52:53], s[52:53], exec
	s_mov_b64 vcc, -1
	s_or_b64 s[48:49], s[48:49], s[52:53]
	s_and_saveexec_b64 s[52:53], s[50:51]
	s_cbranch_execz .LBB6_549
; %bb.553:                              ;   in Loop: Header=BB6_550 Depth=2
	s_sleep 1
	s_trap 2
	ds_read_b64 v[12:13], v0
	s_andn2_b64 s[48:49], s[48:49], exec
	s_waitcnt lgkmcnt(0)
	v_cmp_ge_u64_e32 vcc, v[12:13], v[36:37]
	s_orn2_b64 vcc, vcc, exec
	s_branch .LBB6_549
.LBB6_554:                              ;   in Loop: Header=BB6_401 Depth=1
	s_or_b64 exec, exec, s[44:45]
	s_and_saveexec_b64 vcc, s[46:47]
	s_xor_b64 vcc, exec, vcc
	s_cbranch_execz .LBB6_556
; %bb.555:                              ;   in Loop: Header=BB6_401 Depth=1
	ds_write_b32 v0, v40
	s_trap 2
.LBB6_556:                              ;   in Loop: Header=BB6_401 Depth=1
	s_or_b64 exec, exec, s[42:43]
	;;#ASMSTART
	s_wakeup
	;;#ASMEND
.LBB6_557:                              ;   in Loop: Header=BB6_401 Depth=1
	s_or_b64 exec, exec, s[40:41]
.LBB6_558:                              ;   in Loop: Header=BB6_401 Depth=1
	s_andn2_saveexec_b64 vcc, s[36:37]
	s_cbranch_execz .LBB6_560
; %bb.559:                              ;   in Loop: Header=BB6_401 Depth=1
	s_waitcnt vmcnt(0) lgkmcnt(0)
	buffer_wbinvl1_vol
	s_barrier
.LBB6_560:                              ;   in Loop: Header=BB6_401 Depth=1
	s_or_b64 exec, exec, vcc
.LBB6_561:                              ;   in Loop: Header=BB6_401 Depth=1
	s_or_b64 exec, exec, s[20:21]
	s_trap 2
	ds_read_b32 v0, v0
	v_cmp_lt_i32_e32 vcc, 0, v10
	v_and_b32_e32 v1, 16, v2
	s_waitcnt lgkmcnt(0)
	v_readfirstlane_b32 s20, v0
	s_cmp_eq_u32 s20, 0
	s_cselect_b64 s[20:21], -1, 0
	s_and_b64 s[20:21], vcc, s[20:21]
	v_cmp_ne_u32_e32 vcc, 0, v1
	s_and_b64 vcc, vcc, s[20:21]
	s_and_saveexec_b64 s[20:21], vcc
	s_cbranch_execz .LBB6_563
; %bb.562:                              ;   in Loop: Header=BB6_401 Depth=1
	s_waitcnt vmcnt(0)
	buffer_wbinvl1_vol
.LBB6_563:                              ;   in Loop: Header=BB6_401 Depth=1
	s_or_b64 exec, exec, s[20:21]
	v_cmp_ne_u32_e32 vcc, 0, v1
	s_and_saveexec_b64 s[20:21], vcc
	s_cbranch_execz .LBB6_399
; %bb.564:                              ;   in Loop: Header=BB6_401 Depth=1
	s_and_saveexec_b64 vcc, s[18:19]
	s_cbranch_execz .LBB6_398
; %bb.565:                              ;   in Loop: Header=BB6_401 Depth=1
	flat_store_dword v[32:33], v40
	s_branch .LBB6_398
.LBB6_566:
	s_or_b64 exec, exec, s[28:29]
	v_accvgpr_read_b32 v27, a9
	v_accvgpr_read_b32 v24, a0
	;; [unrolled: 1-line block ×5, first 2 shown]
.LBB6_567:
	s_or_b64 exec, exec, s[26:27]
.LBB6_568:
	s_or_b64 exec, exec, s[22:23]
	v_and_b32_e32 v0, 0x800, v2
	v_cmp_eq_u32_e32 vcc, 0, v0
	s_and_saveexec_b64 s[4:5], vcc
	s_cbranch_execz .LBB6_603
; %bb.569:
	v_and_b32_e32 v0, 48, v2
	v_cmp_ne_u32_e32 vcc, 0, v0
	s_and_saveexec_b64 s[6:7], vcc
	s_cbranch_execz .LBB6_571
; %bb.570:
	s_waitcnt vmcnt(0) lgkmcnt(0)
	flat_store_dwordx2 v[26:27], v[8:9] offset:104
.LBB6_571:
	s_or_b64 exec, exec, s[6:7]
	s_movk_i32 s6, 0x88
	v_and_b32_e32 v0, 0x88, v2
	v_cmp_eq_u32_e32 vcc, s6, v0
	s_and_saveexec_b64 s[6:7], vcc
	s_cbranch_execz .LBB6_583
; %bb.572:
	s_waitcnt vmcnt(0) lgkmcnt(0)
	v_add_u32_e32 v0, -1, v8
	v_and_b32_e32 v0, 7, v0
	v_mad_u64_u32 v[0:1], s[10:11], v0, 24, v[6:7]
	v_add_co_u32_e32 v4, vcc, 8, v0
	v_addc_co_u32_e32 v5, vcc, 0, v1, vcc
	s_mov_b64 s[10:11], 0
	v_mov_b32_e32 v0, 0
	s_movk_i32 s26, 0x270e
                                        ; implicit-def: $sgpr12_sgpr13
	s_branch .LBB6_577
.LBB6_573:                              ;   in Loop: Header=BB6_577 Depth=1
	s_or_b64 exec, exec, s[22:23]
	v_mov_b32_e32 v1, 0
	s_orn2_b64 s[20:21], s[20:21], exec
.LBB6_574:                              ;   in Loop: Header=BB6_577 Depth=1
	s_or_b64 exec, exec, s[18:19]
	s_and_b64 s[18:19], s[20:21], exec
	v_mov_b32_e32 v0, v1
.LBB6_575:                              ;   in Loop: Header=BB6_577 Depth=1
	s_or_b64 exec, exec, s[16:17]
	s_xor_b64 s[16:17], s[18:19], -1
	s_andn2_b64 s[12:13], s[12:13], exec
	s_and_b64 s[16:17], s[16:17], exec
	s_or_b64 s[12:13], s[12:13], s[16:17]
.LBB6_576:                              ;   in Loop: Header=BB6_577 Depth=1
	s_or_b64 exec, exec, s[14:15]
	s_and_b64 s[14:15], exec, s[12:13]
	s_or_b64 s[10:11], s[14:15], s[10:11]
	s_andn2_b64 exec, exec, s[10:11]
	s_cbranch_execz .LBB6_582
.LBB6_577:                              ; =>This Inner Loop Header: Depth=1
	flat_load_dwordx2 v[6:7], v[4:5] glc
	s_waitcnt vmcnt(0)
	s_or_b64 s[12:13], s[12:13], exec
	s_waitcnt lgkmcnt(0)
	v_cmp_ne_u64_e32 vcc, -1, v[6:7]
	s_and_saveexec_b64 s[14:15], vcc
	s_cbranch_execz .LBB6_576
; %bb.578:                              ;   in Loop: Header=BB6_577 Depth=1
	v_and_b32_e32 v1, 64, v2
	v_cmp_eq_u32_e32 vcc, 0, v1
	s_mov_b64 s[18:19], 0
	s_and_saveexec_b64 s[16:17], vcc
	s_cbranch_execz .LBB6_575
; %bb.579:                              ;   in Loop: Header=BB6_577 Depth=1
	v_add_u32_e32 v1, 1, v0
	v_cmp_lt_i32_e32 vcc, s26, v0
	s_mov_b64 s[20:21], -1
	s_and_saveexec_b64 s[18:19], vcc
	s_cbranch_execz .LBB6_574
; %bb.580:                              ;   in Loop: Header=BB6_577 Depth=1
	s_trap 2
	ds_read_b64 v[0:1], v0
	s_waitcnt lgkmcnt(0)
	flat_load_dword v0, v[0:1] glc
	s_waitcnt vmcnt(0) lgkmcnt(0)
	buffer_invl2
	buffer_wbinvl1_vol
	v_cmp_ne_u32_e32 vcc, 0, v0
	s_and_saveexec_b64 s[22:23], vcc
	s_cbranch_execz .LBB6_573
; %bb.581:                              ;   in Loop: Header=BB6_577 Depth=1
	v_or_b32_e32 v2, 64, v2
	s_xor_b64 s[20:21], exec, -1
	ds_write_b32 v0, v0
	s_trap 2
	s_branch .LBB6_573
.LBB6_582:
	s_or_b64 exec, exec, s[10:11]
.LBB6_583:
	s_or_b64 exec, exec, s[6:7]
	v_and_b32_e32 v0, 0x2000, v2
	v_cmp_ne_u32_e32 vcc, 0, v0
	s_and_saveexec_b64 s[6:7], vcc
	s_cbranch_execz .LBB6_585
; %bb.584:
	s_trap 2
	ds_read_b64 v[0:1], v0
	v_accvgpr_read_b32 v2, a6
	v_accvgpr_read_b32 v3, a7
	s_waitcnt lgkmcnt(0)
	flat_store_dwordx2 v[2:3], v[0:1] offset:16
.LBB6_585:
	s_or_b64 exec, exec, s[6:7]
	v_cmp_ne_u32_e32 vcc, 64, v24
	s_and_b64 exec, exec, vcc
	s_cbranch_execz .LBB6_603
; %bb.586:
	s_waitcnt vmcnt(0)
	v_cmp_ne_u32_sdwa s[6:7], v19, v24 src0_sel:WORD_0 src1_sel:DWORD
	s_and_saveexec_b64 s[10:11], s[6:7]
	s_xor_b64 s[6:7], exec, s[10:11]
	s_cbranch_execz .LBB6_601
; %bb.587:
	v_and_b32_e32 v0, 63, v31
	v_cmp_eq_u32_e32 vcc, 0, v0
	s_and_saveexec_b64 s[10:11], vcc
	s_cbranch_execz .LBB6_600
; %bb.588:
	s_mov_b64 s[14:15], exec
	v_mbcnt_lo_u32_b32 v0, s14, 0
	v_mbcnt_hi_u32_b32 v0, s15, v0
	v_cmp_eq_u32_e32 vcc, 0, v0
	s_waitcnt lgkmcnt(0)
	buffer_wbinvl1_vol
	s_and_saveexec_b64 s[12:13], vcc
	s_cbranch_execz .LBB6_590
; %bb.589:
	s_bcnt1_i32_b64 s14, s[14:15]
	v_mov_b32_e32 v0, s14
	v_mov_b32_e32 v1, 0
	ds_add_u64 v0, v[0:1]
	s_trap 2
.LBB6_590:
	s_or_b64 exec, exec, s[12:13]
	v_ashrrev_i32_e32 v0, 31, v24
	v_lshrrev_b32_e32 v0, 26, v0
	v_add_u32_e32 v0, v24, v0
	v_ashrrev_i32_e32 v0, 6, v0
	s_trap 2
	ds_read_b64 v[2:3], v0
	v_ashrrev_i32_e32 v1, 31, v0
	v_add_co_u32_e32 v0, vcc, v36, v0
	v_addc_co_u32_e32 v1, vcc, v37, v1, vcc
	s_waitcnt lgkmcnt(0)
	v_cmp_lt_u64_e32 vcc, v[2:3], v[0:1]
	s_and_saveexec_b64 s[12:13], vcc
	s_cbranch_execz .LBB6_599
; %bb.591:
	s_mov_b32 s28, 0
	s_mov_b64 s[14:15], 0
                                        ; implicit-def: $sgpr16_sgpr17
                                        ; implicit-def: $sgpr18_sgpr19
	s_branch .LBB6_593
.LBB6_592:                              ;   in Loop: Header=BB6_593 Depth=1
	s_or_b64 exec, exec, s[26:27]
	s_and_b64 s[20:21], exec, s[22:23]
	s_or_b64 s[14:15], s[20:21], s[14:15]
	s_andn2_b64 s[16:17], s[16:17], exec
	s_and_b64 s[20:21], s[18:19], exec
	s_or_b64 s[16:17], s[16:17], s[20:21]
	s_andn2_b64 exec, exec, s[14:15]
	s_cbranch_execz .LBB6_597
.LBB6_593:                              ; =>This Inner Loop Header: Depth=1
	s_add_i32 s28, s28, 1
	s_cmpk_lg_i32 s28, 0x2710
	s_cselect_b64 s[20:21], -1, 0
	s_and_b64 vcc, exec, s[20:21]
                                        ; implicit-def: $sgpr26_sgpr27
	s_cbranch_vccnz .LBB6_595
; %bb.594:                              ;   in Loop: Header=BB6_593 Depth=1
	s_trap 2
	ds_read_b64 v[2:3], v0
	s_andn2_b64 s[20:21], s[20:21], exec
	s_mov_b32 s28, 0
	s_mov_b64 s[26:27], -1
	s_waitcnt lgkmcnt(0)
	flat_load_dword v2, v[2:3] glc
	s_waitcnt vmcnt(0) lgkmcnt(0)
	buffer_invl2
	buffer_wbinvl1_vol
	v_cmp_eq_u32_e32 vcc, 0, v2
	s_and_b64 s[22:23], vcc, exec
	s_or_b64 s[20:21], s[20:21], s[22:23]
.LBB6_595:                              ;   in Loop: Header=BB6_593 Depth=1
	s_andn2_b64 s[18:19], s[18:19], exec
	s_and_b64 s[26:27], s[26:27], exec
	s_mov_b64 s[22:23], -1
	s_or_b64 s[18:19], s[18:19], s[26:27]
	s_and_saveexec_b64 s[26:27], s[20:21]
	s_cbranch_execz .LBB6_592
; %bb.596:                              ;   in Loop: Header=BB6_593 Depth=1
	s_sleep 1
	s_trap 2
	ds_read_b64 v[2:3], v0
	s_andn2_b64 s[18:19], s[18:19], exec
	s_waitcnt lgkmcnt(0)
	v_cmp_ge_u64_e32 vcc, v[2:3], v[0:1]
	s_orn2_b64 s[22:23], vcc, exec
	s_branch .LBB6_592
.LBB6_597:
	s_or_b64 exec, exec, s[14:15]
	s_and_saveexec_b64 s[14:15], s[16:17]
	s_xor_b64 s[14:15], exec, s[14:15]
	s_cbranch_execz .LBB6_599
; %bb.598:
	v_mov_b32_e32 v0, 1
	ds_write_b32 v0, v0
	s_trap 2
.LBB6_599:
	s_or_b64 exec, exec, s[12:13]
	;;#ASMSTART
	s_wakeup
	;;#ASMEND
.LBB6_600:
	s_or_b64 exec, exec, s[10:11]
.LBB6_601:
	s_andn2_saveexec_b64 s[6:7], s[6:7]
	s_cbranch_execz .LBB6_603
; %bb.602:
	s_waitcnt lgkmcnt(0)
	buffer_wbinvl1_vol
	s_barrier
.LBB6_603:
	s_or_b64 exec, exec, s[4:5]
.LBB6_604:
	s_andn2_saveexec_b64 s[26:27], s[24:25]
	s_cbranch_execz .LBB6_606
; %bb.605:
	s_getpc_b64 s[4:5]
	s_add_u32 s4, s4, __PRETTY_FUNCTION__._ZN10PrimitivesI6__half13FuncPreMulSumIS0_E12FanSymmetricILi1EELi0E11ProtoSimpleILi1ELi1ELi0ELi4ELi0ELi0EELi0ELb0ELi0ELi0ELi0EEC2EiiPKiS9_PKvPvmhhhP15ncclDevWorkCollP14ncclDevWorkP2pii@rel32@lo+4
	s_addc_u32 s5, s5, __PRETTY_FUNCTION__._ZN10PrimitivesI6__half13FuncPreMulSumIS0_E12FanSymmetricILi1EELi0E11ProtoSimpleILi1ELi1ELi0ELi4ELi0ELi0EELi0ELb0ELi0ELi0ELi0EEC2EiiPKiS9_PKvPvmhhhP15ncclDevWorkCollP14ncclDevWorkP2pii@rel32@hi+12
	v_mov_b32_e32 v0, s4
	v_mov_b32_e32 v1, s5
	s_getpc_b64 s[6:7]
	s_add_u32 s6, s6, __assert_fail@rel32@lo+4
	s_addc_u32 s7, s7, __assert_fail@rel32@hi+12
	s_swappc_b64 s[30:31], s[6:7]
	; divergent unreachable
.LBB6_606:
	s_or_b64 exec, exec, s[26:27]
	buffer_load_dword v62, off, s[0:3], s33 ; 4-byte Folded Reload
	buffer_load_dword v61, off, s[0:3], s33 offset:4 ; 4-byte Folded Reload
	buffer_load_dword v60, off, s[0:3], s33 offset:8 ; 4-byte Folded Reload
	s_waitcnt lgkmcnt(0)
	buffer_load_dword v59, off, s[0:3], s33 offset:12 ; 4-byte Folded Reload
	buffer_load_dword v58, off, s[0:3], s33 offset:16 ; 4-byte Folded Reload
	;; [unrolled: 1-line block ×10, first 2 shown]
	v_readlane_b32 s30, v63, 40
	v_readlane_b32 s31, v63, 41
	;; [unrolled: 1-line block ×42, first 2 shown]
	v_accvgpr_read_b32 v41, a31             ;  Reload Reuse
	v_accvgpr_read_b32 v40, a30             ;  Reload Reuse
	v_readlane_b32 s4, v63, 42
	s_or_saveexec_b64 s[6:7], -1
	buffer_load_dword v63, off, s[0:3], s33 offset:52 ; 4-byte Folded Reload
	s_mov_b64 exec, s[6:7]
	s_addk_i32 s32, 0xf000
	s_mov_b32 s33, s4
	s_waitcnt vmcnt(0)
	s_setpc_b64 s[30:31]
.Lfunc_end6:
	.size	_ZN12_GLOBAL__N_17runRingI6__half13FuncPreMulSumIS1_E11ProtoSimpleILi1ELi1ELi0ELi4ELi0ELi0EELi0ELi4ELi0EEEviiP15ncclDevWorkColl, .Lfunc_end6-_ZN12_GLOBAL__N_17runRingI6__half13FuncPreMulSumIS1_E11ProtoSimpleILi1ELi1ELi0ELi4ELi0ELi0EELi0ELi4ELi0EEEviiP15ncclDevWorkColl
                                        ; -- End function
	.section	.AMDGPU.csdata,"",@progbits
; Function info:
; codeLenInByte = 21804
; NumSgprs: 78
; NumVgprs: 64
; NumAgprs: 32
; TotalNumVgprs: 96
; ScratchSize: 128
; MemoryBound: 1
	.text
	.p2align	2                               ; -- Begin function _Z50ncclDevFunc_Reduce_RING_SIMPLE_PreMulSum_f16_0_0_4v
	.type	_Z50ncclDevFunc_Reduce_RING_SIMPLE_PreMulSum_f16_0_0_4v,@function
_Z50ncclDevFunc_Reduce_RING_SIMPLE_PreMulSum_f16_0_0_4v: ; @_Z50ncclDevFunc_Reduce_RING_SIMPLE_PreMulSum_f16_0_0_4v
; %bb.0:
	s_waitcnt vmcnt(0) expcnt(0) lgkmcnt(0)
	s_mov_b32 s4, s33
	s_mov_b32 s33, s32
	s_or_saveexec_b64 s[6:7], -1
	buffer_store_dword v43, off, s[0:3], s33 offset:16 ; 4-byte Folded Spill
	s_mov_b64 exec, s[6:7]
	v_writelane_b32 v43, s4, 50
	s_addk_i32 s32, 0x800
	buffer_store_dword v40, off, s[0:3], s33 offset:12 ; 4-byte Folded Spill
	buffer_store_dword v41, off, s[0:3], s33 offset:8 ; 4-byte Folded Spill
	;; [unrolled: 1-line block ×3, first 2 shown]
	buffer_store_dword v63, off, s[0:3], s33 ; 4-byte Folded Spill
	v_writelane_b32 v43, s34, 0
	v_writelane_b32 v43, s35, 1
	;; [unrolled: 1-line block ×50, first 2 shown]
	s_trap 2
	ds_read_b32 v0, v0
	v_mov_b32_e32 v40, v31
	v_and_b32_e32 v41, 0x3ff, v40
	s_mov_b32 s76, s12
	s_mov_b64 s[74:75], s[8:9]
	s_waitcnt lgkmcnt(0)
	v_cmp_lt_i32_e32 vcc, v41, v0
	s_and_saveexec_b64 s[4:5], vcc
	s_cbranch_execz .LBB7_5
; %bb.1:
	s_load_dword s6, s[74:75], 0x0
	v_mov_b32_e32 v1, 0
	s_mov_b32 s10, 0
	v_mov_b32_e32 v4, v41
                                        ; implicit-def: $vgpr2
	s_waitcnt lgkmcnt(0)
	s_cmp_lt_u32 s76, s6
	s_cselect_b32 s6, 12, 18
	s_add_u32 s6, s74, s6
	s_addc_u32 s7, s75, 0
	global_load_ushort v1, v1, s[6:7]
	s_trap 2
	ds_read_b32 v3, v0
	s_mov_b64 s[6:7], 0
	s_waitcnt vmcnt(0) lgkmcnt(0)
	v_mul_lo_u32 v3, v3, v1
	s_branch .LBB7_3
.LBB7_2:                                ;   in Loop: Header=BB7_3 Depth=1
	s_or_b64 exec, exec, s[8:9]
	v_add_u32_e32 v4, v4, v1
	v_cmp_ge_i32_e32 vcc, v4, v0
	s_or_b64 s[6:7], vcc, s[6:7]
	v_add_u32_e32 v2, v2, v3
	s_andn2_b64 exec, exec, s[6:7]
	s_cbranch_execz .LBB7_5
.LBB7_3:                                ; =>This Inner Loop Header: Depth=1
	ds_read_b32 v5, v2
	s_waitcnt lgkmcnt(0)
	v_and_b32_e32 v5, 0x1000000, v5
	v_cmp_ne_u32_e32 vcc, 0, v5
	s_and_saveexec_b64 s[8:9], vcc
	s_cbranch_execz .LBB7_2
; %bb.4:                                ;   in Loop: Header=BB7_3 Depth=1
	ds_read_b64 v[6:7], v2 offset:104
	s_waitcnt lgkmcnt(0)
	flat_load_ushort v5, v[6:7]
	v_mov_b32_e32 v7, s10
	s_waitcnt vmcnt(0) lgkmcnt(0)
	v_and_b32_e32 v6, 0xffff, v5
	ds_write_b64 v2, v[6:7] offset:104
	s_branch .LBB7_2
.LBB7_5:
	s_or_b64 exec, exec, s[4:5]
	s_waitcnt lgkmcnt(0)
	s_barrier
	s_trap 2
	ds_read_b32 v0, v0
	s_waitcnt lgkmcnt(0)
	v_cmp_gt_i32_e32 vcc, 1, v0
	s_cbranch_vccnz .LBB7_13
; %bb.6:
	s_mov_b32 s77, 0
	s_mov_b64 s[78:79], src_shared_base
	v_mov_b32_e32 v42, 6
	s_branch .LBB7_8
.LBB7_7:                                ;   in Loop: Header=BB7_8 Depth=1
	s_or_b64 exec, exec, s[80:81]
	s_trap 2
	ds_read_b32 v0, v0
	s_add_i32 s77, s77, 1
	s_waitcnt lgkmcnt(0)
	v_cmp_lt_i32_e32 vcc, s77, v0
	s_cbranch_vccz .LBB7_13
.LBB7_8:                                ; =>This Inner Loop Header: Depth=1
	s_trap 2
	ds_read_b32 v0, v0
	s_cmp_eq_u32 s77, 0
	s_cbranch_scc1 .LBB7_11
; %bb.9:                                ;   in Loop: Header=BB7_8 Depth=1
	s_trap 2
	s_waitcnt lgkmcnt(0)
	ds_read_b32 v1, v0
	s_waitcnt lgkmcnt(0)
	v_xor_b32_e32 v1, v1, v0
	v_and_b32_e32 v1, 0xff0000, v1
	v_cmp_eq_u32_e32 vcc, 0, v1
	s_cbranch_vccnz .LBB7_11
; %bb.10:                               ;   in Loop: Header=BB7_8 Depth=1
	s_barrier
	ds_read_b32 v0, v0
.LBB7_11:                               ;   in Loop: Header=BB7_8 Depth=1
	s_waitcnt lgkmcnt(0)
	v_lshlrev_b32_sdwa v1, v42, v0 dst_sel:DWORD dst_unused:UNUSED_PAD src0_sel:DWORD src1_sel:BYTE_2
	v_cmp_lt_u32_e32 vcc, v41, v1
	s_and_saveexec_b64 s[80:81], vcc
	s_cbranch_execz .LBB7_7
; %bb.12:                               ;   in Loop: Header=BB7_8 Depth=1
	s_mov_b64 s[8:9], s[74:75]
	s_mov_b32 s12, s76
	v_mov_b32_e32 v31, v40
	v_mov_b32_e32 v0, v41
	;; [unrolled: 1-line block ×3, first 2 shown]
	s_getpc_b64 s[4:5]
	s_add_u32 s4, s4, _ZN12_GLOBAL__N_17runRingI6__half13FuncPreMulSumIS1_E11ProtoSimpleILi1ELi1ELi0ELi4ELi0ELi0EELi0ELi4ELi0EEEviiP15ncclDevWorkColl@rel32@lo+4
	s_addc_u32 s5, s5, _ZN12_GLOBAL__N_17runRingI6__half13FuncPreMulSumIS1_E11ProtoSimpleILi1ELi1ELi0ELi4ELi0ELi0EELi0ELi4ELi0EEEviiP15ncclDevWorkColl@rel32@hi+12
	s_swappc_b64 s[30:31], s[4:5]
	s_branch .LBB7_7
.LBB7_13:
	buffer_load_dword v63, off, s[0:3], s33 ; 4-byte Folded Reload
	buffer_load_dword v42, off, s[0:3], s33 offset:4 ; 4-byte Folded Reload
	buffer_load_dword v41, off, s[0:3], s33 offset:8 ; 4-byte Folded Reload
	;; [unrolled: 1-line block ×3, first 2 shown]
	v_readlane_b32 s30, v43, 48
	v_readlane_b32 s31, v43, 49
	;; [unrolled: 1-line block ×51, first 2 shown]
	s_or_saveexec_b64 s[6:7], -1
	buffer_load_dword v43, off, s[0:3], s33 offset:16 ; 4-byte Folded Reload
	s_mov_b64 exec, s[6:7]
	s_addk_i32 s32, 0xf800
	s_mov_b32 s33, s4
	s_waitcnt vmcnt(0)
	s_setpc_b64 s[30:31]
.Lfunc_end7:
	.size	_Z50ncclDevFunc_Reduce_RING_SIMPLE_PreMulSum_f16_0_0_4v, .Lfunc_end7-_Z50ncclDevFunc_Reduce_RING_SIMPLE_PreMulSum_f16_0_0_4v
                                        ; -- End function
	.section	.AMDGPU.csdata,"",@progbits
; Function info:
; codeLenInByte = 1408
; NumSgprs: 86
; NumVgprs: 64
; NumAgprs: 32
; TotalNumVgprs: 96
; ScratchSize: 160
; MemoryBound: 0
	.text
	.p2alignl 6, 3212836864
	.fill 256, 4, 3212836864
	.type	__const.__assert_fail.fmt,@object ; @__const.__assert_fail.fmt
	.section	.rodata.str1.16,"aMS",@progbits,1
	.p2align	4, 0x0
__const.__assert_fail.fmt:
	.asciz	"%s:%u: %s: Device-side assertion `%s' failed.\n"
	.size	__const.__assert_fail.fmt, 47

	.type	.str.1,@object                  ; @.str.1
	.section	.rodata.str1.1,"aMS",@progbits,1
.str.1:
	.asciz	"2*(nrecv+nsend) <= nthreads"
	.size	.str.1, 28

	.type	.str.2,@object                  ; @.str.2
.str.2:
	.asciz	"/root/src/amdgpu-assembly/repos/ROCm__rccl/hipify/src/device/prims_simple.h"
	.size	.str.2, 76

	.type	__PRETTY_FUNCTION__._ZN10PrimitivesI6__half13FuncPreMulSumIS0_E12FanSymmetricILi1EELi0E11ProtoSimpleILi1ELi1ELi0ELi1ELi0ELi0EELi0ELb0ELi0ELi0ELi0EEC2EiiPKiS9_PKvPvmhhhP15ncclDevWorkCollP14ncclDevWorkP2pii,@object ; @__PRETTY_FUNCTION__._ZN10PrimitivesI6__half13FuncPreMulSumIS0_E12FanSymmetricILi1EELi0E11ProtoSimpleILi1ELi1ELi0ELi1ELi0ELi0EELi0ELb0ELi0ELi0ELi0EEC2EiiPKiS9_PKvPvmhhhP15ncclDevWorkCollP14ncclDevWorkP2pii
__PRETTY_FUNCTION__._ZN10PrimitivesI6__half13FuncPreMulSumIS0_E12FanSymmetricILi1EELi0E11ProtoSimpleILi1ELi1ELi0ELi1ELi0ELi0EELi0ELb0ELi0ELi0ELi0EEC2EiiPKiS9_PKvPvmhhhP15ncclDevWorkCollP14ncclDevWorkP2pii:
	.asciz	"Primitives<__half, FuncPreMulSum<half>, FanSymmetric<1>, 0, ProtoSimple<1, 1, 0, 1>, 0>::Primitives(int, int, const int *, const int *, const void *, void *, uint64_t, uint8_t, uint8_t, uint8_t, struct ncclDevWorkColl *, struct ncclDevWorkP2p *, int, int) [T = __half, RedOp = FuncPreMulSum<half>, Fan = FanSymmetric<1>, Direct = 0, Proto = ProtoSimple<1, 1, 0, 1>, P2p = 0, isNetOffload = false, Metadata = 0, Pipeline = 0, useAcc = 0]"
	.size	__PRETTY_FUNCTION__._ZN10PrimitivesI6__half13FuncPreMulSumIS0_E12FanSymmetricILi1EELi0E11ProtoSimpleILi1ELi1ELi0ELi1ELi0ELi0EELi0ELb0ELi0ELi0ELi0EEC2EiiPKiS9_PKvPvmhhhP15ncclDevWorkCollP14ncclDevWorkP2pii, 437

	.type	__PRETTY_FUNCTION__._ZN10PrimitivesI6__half13FuncPreMulSumIS0_E12FanSymmetricILi1EELi0E11ProtoSimpleILi1ELi1ELi0ELi2ELi0ELi0EELi0ELb0ELi0ELi0ELi0EEC2EiiPKiS9_PKvPvmhhhP15ncclDevWorkCollP14ncclDevWorkP2pii,@object ; @__PRETTY_FUNCTION__._ZN10PrimitivesI6__half13FuncPreMulSumIS0_E12FanSymmetricILi1EELi0E11ProtoSimpleILi1ELi1ELi0ELi2ELi0ELi0EELi0ELb0ELi0ELi0ELi0EEC2EiiPKiS9_PKvPvmhhhP15ncclDevWorkCollP14ncclDevWorkP2pii
__PRETTY_FUNCTION__._ZN10PrimitivesI6__half13FuncPreMulSumIS0_E12FanSymmetricILi1EELi0E11ProtoSimpleILi1ELi1ELi0ELi2ELi0ELi0EELi0ELb0ELi0ELi0ELi0EEC2EiiPKiS9_PKvPvmhhhP15ncclDevWorkCollP14ncclDevWorkP2pii:
	.asciz	"Primitives<__half, FuncPreMulSum<half>, FanSymmetric<1>, 0, ProtoSimple<1, 1, 0, 2>, 0>::Primitives(int, int, const int *, const int *, const void *, void *, uint64_t, uint8_t, uint8_t, uint8_t, struct ncclDevWorkColl *, struct ncclDevWorkP2p *, int, int) [T = __half, RedOp = FuncPreMulSum<half>, Fan = FanSymmetric<1>, Direct = 0, Proto = ProtoSimple<1, 1, 0, 2>, P2p = 0, isNetOffload = false, Metadata = 0, Pipeline = 0, useAcc = 0]"
	.size	__PRETTY_FUNCTION__._ZN10PrimitivesI6__half13FuncPreMulSumIS0_E12FanSymmetricILi1EELi0E11ProtoSimpleILi1ELi1ELi0ELi2ELi0ELi0EELi0ELb0ELi0ELi0ELi0EEC2EiiPKiS9_PKvPvmhhhP15ncclDevWorkCollP14ncclDevWorkP2pii, 437

	.type	__PRETTY_FUNCTION__._ZN10PrimitivesI6__half13FuncPreMulSumIS0_E12FanSymmetricILi1EELi0E11ProtoSimpleILi1ELi1ELi0ELi4ELi0ELi0EELi0ELb0ELi0ELi0ELi0EEC2EiiPKiS9_PKvPvmhhhP15ncclDevWorkCollP14ncclDevWorkP2pii,@object ; @__PRETTY_FUNCTION__._ZN10PrimitivesI6__half13FuncPreMulSumIS0_E12FanSymmetricILi1EELi0E11ProtoSimpleILi1ELi1ELi0ELi4ELi0ELi0EELi0ELb0ELi0ELi0ELi0EEC2EiiPKiS9_PKvPvmhhhP15ncclDevWorkCollP14ncclDevWorkP2pii
__PRETTY_FUNCTION__._ZN10PrimitivesI6__half13FuncPreMulSumIS0_E12FanSymmetricILi1EELi0E11ProtoSimpleILi1ELi1ELi0ELi4ELi0ELi0EELi0ELb0ELi0ELi0ELi0EEC2EiiPKiS9_PKvPvmhhhP15ncclDevWorkCollP14ncclDevWorkP2pii:
	.asciz	"Primitives<__half, FuncPreMulSum<half>, FanSymmetric<1>, 0, ProtoSimple<1, 1, 0, 4>, 0>::Primitives(int, int, const int *, const int *, const void *, void *, uint64_t, uint8_t, uint8_t, uint8_t, struct ncclDevWorkColl *, struct ncclDevWorkP2p *, int, int) [T = __half, RedOp = FuncPreMulSum<half>, Fan = FanSymmetric<1>, Direct = 0, Proto = ProtoSimple<1, 1, 0, 4>, P2p = 0, isNetOffload = false, Metadata = 0, Pipeline = 0, useAcc = 0]"
	.size	__PRETTY_FUNCTION__._ZN10PrimitivesI6__half13FuncPreMulSumIS0_E12FanSymmetricILi1EELi0E11ProtoSimpleILi1ELi1ELi0ELi4ELi0ELi0EELi0ELb0ELi0ELi0ELi0EEC2EiiPKiS9_PKvPvmhhhP15ncclDevWorkCollP14ncclDevWorkP2pii, 437

	.type	__hip_cuid_c8fc0bf504387c97,@object ; @__hip_cuid_c8fc0bf504387c97
	.section	.bss,"aw",@nobits
	.globl	__hip_cuid_c8fc0bf504387c97
__hip_cuid_c8fc0bf504387c97:
	.byte	0                               ; 0x0
	.size	__hip_cuid_c8fc0bf504387c97, 1

	.ident	"AMD clang version 19.0.0git (https://github.com/RadeonOpenCompute/llvm-project roc-6.4.0 25133 c7fe45cf4b819c5991fe208aaa96edf142730f1d)"
	.section	".note.GNU-stack","",@progbits
	.addrsig
	.addrsig_sym _Z50ncclDevFunc_Reduce_RING_SIMPLE_PreMulSum_f16_0_0_1v
	.addrsig_sym _Z50ncclDevFunc_Reduce_RING_SIMPLE_PreMulSum_f16_0_0_2v
	.addrsig_sym _Z50ncclDevFunc_Reduce_RING_SIMPLE_PreMulSum_f16_0_0_4v
	.addrsig_sym ncclShmem
	.addrsig_sym __hip_cuid_c8fc0bf504387c97
	.amdgpu_metadata
---
amdhsa.kernels:  []
amdhsa.target:   amdgcn-amd-amdhsa--gfx90a
amdhsa.version:
  - 1
  - 2
...

	.end_amdgpu_metadata
